;; amdgpu-corpus repo=ROCm/rocFFT kind=compiled arch=gfx1030 opt=O3
	.text
	.amdgcn_target "amdgcn-amd-amdhsa--gfx1030"
	.amdhsa_code_object_version 6
	.protected	fft_rtc_back_len1400_factors_2_2_2_5_7_5_wgs_56_tpt_56_halfLds_sp_op_CI_CI_unitstride_sbrr_dirReg ; -- Begin function fft_rtc_back_len1400_factors_2_2_2_5_7_5_wgs_56_tpt_56_halfLds_sp_op_CI_CI_unitstride_sbrr_dirReg
	.globl	fft_rtc_back_len1400_factors_2_2_2_5_7_5_wgs_56_tpt_56_halfLds_sp_op_CI_CI_unitstride_sbrr_dirReg
	.p2align	8
	.type	fft_rtc_back_len1400_factors_2_2_2_5_7_5_wgs_56_tpt_56_halfLds_sp_op_CI_CI_unitstride_sbrr_dirReg,@function
fft_rtc_back_len1400_factors_2_2_2_5_7_5_wgs_56_tpt_56_halfLds_sp_op_CI_CI_unitstride_sbrr_dirReg: ; @fft_rtc_back_len1400_factors_2_2_2_5_7_5_wgs_56_tpt_56_halfLds_sp_op_CI_CI_unitstride_sbrr_dirReg
; %bb.0:
	s_clause 0x2
	s_load_dwordx4 s[12:15], s[4:5], 0x0
	s_load_dwordx4 s[8:11], s[4:5], 0x58
	;; [unrolled: 1-line block ×3, first 2 shown]
	v_mul_u32_u24_e32 v1, 0x493, v0
	v_mov_b32_e32 v7, 0
	v_mov_b32_e32 v5, 0
	;; [unrolled: 1-line block ×3, first 2 shown]
	v_add_nc_u32_sdwa v9, s6, v1 dst_sel:DWORD dst_unused:UNUSED_PAD src0_sel:DWORD src1_sel:WORD_1
	v_mov_b32_e32 v10, v7
	s_waitcnt lgkmcnt(0)
	v_cmp_lt_u64_e64 s0, s[14:15], 2
	s_and_b32 vcc_lo, exec_lo, s0
	s_cbranch_vccnz .LBB0_8
; %bb.1:
	s_load_dwordx2 s[0:1], s[4:5], 0x10
	v_mov_b32_e32 v5, 0
	v_mov_b32_e32 v6, 0
	s_add_u32 s2, s18, 8
	s_addc_u32 s3, s19, 0
	v_mov_b32_e32 v1, v5
	s_add_u32 s6, s16, 8
	v_mov_b32_e32 v2, v6
	s_addc_u32 s7, s17, 0
	s_mov_b64 s[22:23], 1
	s_waitcnt lgkmcnt(0)
	s_add_u32 s20, s0, 8
	s_addc_u32 s21, s1, 0
.LBB0_2:                                ; =>This Inner Loop Header: Depth=1
	s_load_dwordx2 s[24:25], s[20:21], 0x0
                                        ; implicit-def: $vgpr3_vgpr4
	s_mov_b32 s0, exec_lo
	s_waitcnt lgkmcnt(0)
	v_or_b32_e32 v8, s25, v10
	v_cmpx_ne_u64_e32 0, v[7:8]
	s_xor_b32 s1, exec_lo, s0
	s_cbranch_execz .LBB0_4
; %bb.3:                                ;   in Loop: Header=BB0_2 Depth=1
	v_cvt_f32_u32_e32 v3, s24
	v_cvt_f32_u32_e32 v4, s25
	s_sub_u32 s0, 0, s24
	s_subb_u32 s26, 0, s25
	v_fmac_f32_e32 v3, 0x4f800000, v4
	v_rcp_f32_e32 v3, v3
	v_mul_f32_e32 v3, 0x5f7ffffc, v3
	v_mul_f32_e32 v4, 0x2f800000, v3
	v_trunc_f32_e32 v4, v4
	v_fmac_f32_e32 v3, 0xcf800000, v4
	v_cvt_u32_f32_e32 v4, v4
	v_cvt_u32_f32_e32 v3, v3
	v_mul_lo_u32 v8, s0, v4
	v_mul_hi_u32 v11, s0, v3
	v_mul_lo_u32 v12, s26, v3
	v_add_nc_u32_e32 v8, v11, v8
	v_mul_lo_u32 v11, s0, v3
	v_add_nc_u32_e32 v8, v8, v12
	v_mul_hi_u32 v12, v3, v11
	v_mul_lo_u32 v13, v3, v8
	v_mul_hi_u32 v14, v3, v8
	v_mul_hi_u32 v15, v4, v11
	v_mul_lo_u32 v11, v4, v11
	v_mul_hi_u32 v16, v4, v8
	v_mul_lo_u32 v8, v4, v8
	v_add_co_u32 v12, vcc_lo, v12, v13
	v_add_co_ci_u32_e32 v13, vcc_lo, 0, v14, vcc_lo
	v_add_co_u32 v11, vcc_lo, v12, v11
	v_add_co_ci_u32_e32 v11, vcc_lo, v13, v15, vcc_lo
	v_add_co_ci_u32_e32 v12, vcc_lo, 0, v16, vcc_lo
	v_add_co_u32 v8, vcc_lo, v11, v8
	v_add_co_ci_u32_e32 v11, vcc_lo, 0, v12, vcc_lo
	v_add_co_u32 v3, vcc_lo, v3, v8
	v_add_co_ci_u32_e32 v4, vcc_lo, v4, v11, vcc_lo
	v_mul_hi_u32 v8, s0, v3
	v_mul_lo_u32 v12, s26, v3
	v_mul_lo_u32 v11, s0, v4
	v_add_nc_u32_e32 v8, v8, v11
	v_mul_lo_u32 v11, s0, v3
	v_add_nc_u32_e32 v8, v8, v12
	v_mul_hi_u32 v12, v3, v11
	v_mul_lo_u32 v13, v3, v8
	v_mul_hi_u32 v14, v3, v8
	v_mul_hi_u32 v15, v4, v11
	v_mul_lo_u32 v11, v4, v11
	v_mul_hi_u32 v16, v4, v8
	v_mul_lo_u32 v8, v4, v8
	v_add_co_u32 v12, vcc_lo, v12, v13
	v_add_co_ci_u32_e32 v13, vcc_lo, 0, v14, vcc_lo
	v_add_co_u32 v11, vcc_lo, v12, v11
	v_add_co_ci_u32_e32 v11, vcc_lo, v13, v15, vcc_lo
	v_add_co_ci_u32_e32 v12, vcc_lo, 0, v16, vcc_lo
	v_add_co_u32 v8, vcc_lo, v11, v8
	v_add_co_ci_u32_e32 v11, vcc_lo, 0, v12, vcc_lo
	v_add_co_u32 v8, vcc_lo, v3, v8
	v_add_co_ci_u32_e32 v13, vcc_lo, v4, v11, vcc_lo
	v_mul_hi_u32 v15, v9, v8
	v_mad_u64_u32 v[11:12], null, v10, v8, 0
	v_mad_u64_u32 v[3:4], null, v9, v13, 0
	;; [unrolled: 1-line block ×3, first 2 shown]
	v_add_co_u32 v3, vcc_lo, v15, v3
	v_add_co_ci_u32_e32 v4, vcc_lo, 0, v4, vcc_lo
	v_add_co_u32 v3, vcc_lo, v3, v11
	v_add_co_ci_u32_e32 v3, vcc_lo, v4, v12, vcc_lo
	v_add_co_ci_u32_e32 v4, vcc_lo, 0, v14, vcc_lo
	v_add_co_u32 v8, vcc_lo, v3, v13
	v_add_co_ci_u32_e32 v11, vcc_lo, 0, v4, vcc_lo
	v_mul_lo_u32 v12, s25, v8
	v_mad_u64_u32 v[3:4], null, s24, v8, 0
	v_mul_lo_u32 v13, s24, v11
	v_sub_co_u32 v3, vcc_lo, v9, v3
	v_add3_u32 v4, v4, v13, v12
	v_sub_nc_u32_e32 v12, v10, v4
	v_subrev_co_ci_u32_e64 v12, s0, s25, v12, vcc_lo
	v_add_co_u32 v13, s0, v8, 2
	v_add_co_ci_u32_e64 v14, s0, 0, v11, s0
	v_sub_co_u32 v15, s0, v3, s24
	v_sub_co_ci_u32_e32 v4, vcc_lo, v10, v4, vcc_lo
	v_subrev_co_ci_u32_e64 v12, s0, 0, v12, s0
	v_cmp_le_u32_e32 vcc_lo, s24, v15
	v_cmp_eq_u32_e64 s0, s25, v4
	v_cndmask_b32_e64 v15, 0, -1, vcc_lo
	v_cmp_le_u32_e32 vcc_lo, s25, v12
	v_cndmask_b32_e64 v16, 0, -1, vcc_lo
	v_cmp_le_u32_e32 vcc_lo, s24, v3
	;; [unrolled: 2-line block ×3, first 2 shown]
	v_cndmask_b32_e64 v17, 0, -1, vcc_lo
	v_cmp_eq_u32_e32 vcc_lo, s25, v12
	v_cndmask_b32_e64 v3, v17, v3, s0
	v_cndmask_b32_e32 v12, v16, v15, vcc_lo
	v_add_co_u32 v15, vcc_lo, v8, 1
	v_add_co_ci_u32_e32 v16, vcc_lo, 0, v11, vcc_lo
	v_cmp_ne_u32_e32 vcc_lo, 0, v12
	v_cndmask_b32_e32 v4, v16, v14, vcc_lo
	v_cndmask_b32_e32 v12, v15, v13, vcc_lo
	v_cmp_ne_u32_e32 vcc_lo, 0, v3
	v_cndmask_b32_e32 v4, v11, v4, vcc_lo
	v_cndmask_b32_e32 v3, v8, v12, vcc_lo
.LBB0_4:                                ;   in Loop: Header=BB0_2 Depth=1
	s_andn2_saveexec_b32 s0, s1
	s_cbranch_execz .LBB0_6
; %bb.5:                                ;   in Loop: Header=BB0_2 Depth=1
	v_cvt_f32_u32_e32 v3, s24
	s_sub_i32 s1, 0, s24
	v_rcp_iflag_f32_e32 v3, v3
	v_mul_f32_e32 v3, 0x4f7ffffe, v3
	v_cvt_u32_f32_e32 v3, v3
	v_mul_lo_u32 v4, s1, v3
	v_mul_hi_u32 v4, v3, v4
	v_add_nc_u32_e32 v3, v3, v4
	v_mul_hi_u32 v3, v9, v3
	v_mul_lo_u32 v4, v3, s24
	v_add_nc_u32_e32 v8, 1, v3
	v_sub_nc_u32_e32 v4, v9, v4
	v_subrev_nc_u32_e32 v11, s24, v4
	v_cmp_le_u32_e32 vcc_lo, s24, v4
	v_cndmask_b32_e32 v4, v4, v11, vcc_lo
	v_cndmask_b32_e32 v3, v3, v8, vcc_lo
	v_cmp_le_u32_e32 vcc_lo, s24, v4
	v_add_nc_u32_e32 v8, 1, v3
	v_mov_b32_e32 v4, v7
	v_cndmask_b32_e32 v3, v3, v8, vcc_lo
.LBB0_6:                                ;   in Loop: Header=BB0_2 Depth=1
	s_or_b32 exec_lo, exec_lo, s0
	v_mul_lo_u32 v8, v4, s24
	v_mul_lo_u32 v13, v3, s25
	s_load_dwordx2 s[0:1], s[6:7], 0x0
	v_mad_u64_u32 v[11:12], null, v3, s24, 0
	s_load_dwordx2 s[24:25], s[2:3], 0x0
	s_add_u32 s22, s22, 1
	s_addc_u32 s23, s23, 0
	s_add_u32 s2, s2, 8
	s_addc_u32 s3, s3, 0
	s_add_u32 s6, s6, 8
	v_add3_u32 v8, v12, v13, v8
	v_sub_co_u32 v9, vcc_lo, v9, v11
	s_addc_u32 s7, s7, 0
	s_add_u32 s20, s20, 8
	v_sub_co_ci_u32_e32 v8, vcc_lo, v10, v8, vcc_lo
	s_addc_u32 s21, s21, 0
	s_waitcnt lgkmcnt(0)
	v_mul_lo_u32 v10, s0, v8
	v_mul_lo_u32 v11, s1, v9
	v_mad_u64_u32 v[5:6], null, s0, v9, v[5:6]
	v_mul_lo_u32 v8, s24, v8
	v_mul_lo_u32 v12, s25, v9
	v_mad_u64_u32 v[1:2], null, s24, v9, v[1:2]
	v_cmp_ge_u64_e64 s0, s[22:23], s[14:15]
	v_add3_u32 v6, v11, v6, v10
	v_add3_u32 v2, v12, v2, v8
	s_and_b32 vcc_lo, exec_lo, s0
	s_cbranch_vccnz .LBB0_9
; %bb.7:                                ;   in Loop: Header=BB0_2 Depth=1
	v_mov_b32_e32 v10, v4
	v_mov_b32_e32 v9, v3
	s_branch .LBB0_2
.LBB0_8:
	v_mov_b32_e32 v1, v5
	v_mov_b32_e32 v3, v9
	;; [unrolled: 1-line block ×4, first 2 shown]
.LBB0_9:
	s_load_dwordx2 s[0:1], s[4:5], 0x28
	v_mul_hi_u32 v9, 0x4924925, v0
	s_lshl_b64 s[4:5], s[14:15], 3
                                        ; implicit-def: $sgpr6
                                        ; implicit-def: $vgpr82
                                        ; implicit-def: $vgpr80
	s_add_u32 s2, s18, s4
	s_addc_u32 s3, s19, s5
	s_waitcnt lgkmcnt(0)
	v_cmp_gt_u64_e32 vcc_lo, s[0:1], v[3:4]
	v_cmp_le_u64_e64 s0, s[0:1], v[3:4]
	s_and_saveexec_b32 s1, s0
	s_xor_b32 s0, exec_lo, s1
; %bb.10:
	v_mul_u32_u24_e32 v5, 56, v9
	s_mov_b32 s6, 0
                                        ; implicit-def: $vgpr9
	v_sub_nc_u32_e32 v82, v0, v5
                                        ; implicit-def: $vgpr0
                                        ; implicit-def: $vgpr5_vgpr6
	v_or_b32_e32 v80, 0x1c0, v82
; %bb.11:
	s_or_saveexec_b32 s1, s0
	s_load_dwordx2 s[2:3], s[2:3], 0x0
	v_mov_b32_e32 v8, s6
	v_mov_b32_e32 v7, s6
                                        ; implicit-def: $vgpr12
                                        ; implicit-def: $vgpr65
                                        ; implicit-def: $vgpr14
                                        ; implicit-def: $vgpr16
                                        ; implicit-def: $vgpr10
                                        ; implicit-def: $vgpr24
                                        ; implicit-def: $vgpr44
                                        ; implicit-def: $vgpr26
                                        ; implicit-def: $vgpr20
                                        ; implicit-def: $vgpr30
                                        ; implicit-def: $vgpr18
                                        ; implicit-def: $vgpr22
                                        ; implicit-def: $vgpr32
                                        ; implicit-def: $vgpr39
                                        ; implicit-def: $vgpr28
                                        ; implicit-def: $vgpr34
                                        ; implicit-def: $vgpr57
                                        ; implicit-def: $vgpr51
                                        ; implicit-def: $vgpr53
                                        ; implicit-def: $vgpr67
                                        ; implicit-def: $vgpr55
                                        ; implicit-def: $vgpr46
                                        ; implicit-def: $vgpr63
                                        ; implicit-def: $vgpr59
                                        ; implicit-def: $vgpr61
	s_xor_b32 exec_lo, exec_lo, s1
	s_cbranch_execz .LBB0_15
; %bb.12:
	s_add_u32 s4, s16, s4
	s_addc_u32 s5, s17, s5
	v_mul_u32_u24_e32 v9, 56, v9
	s_load_dwordx2 s[4:5], s[4:5], 0x0
	v_lshlrev_b64 v[5:6], 3, v[5:6]
                                        ; implicit-def: $vgpr66
	v_sub_nc_u32_e32 v82, v0, v9
	v_or_b32_e32 v80, 0x1c0, v82
	v_lshlrev_b32_e32 v9, 3, v82
	s_waitcnt lgkmcnt(0)
	v_mul_lo_u32 v10, s5, v3
	v_mul_lo_u32 v11, s4, v4
	v_mad_u64_u32 v[7:8], null, s4, v3, 0
	s_mov_b32 s4, exec_lo
	v_add3_u32 v8, v8, v11, v10
	v_lshlrev_b64 v[7:8], 3, v[7:8]
	v_add_co_u32 v0, s0, s8, v7
	v_add_co_ci_u32_e64 v7, s0, s9, v8, s0
	v_add_co_u32 v0, s0, v0, v5
	v_add_co_ci_u32_e64 v35, s0, v7, v6, s0
	v_lshlrev_b32_e32 v5, 3, v80
	v_add_co_u32 v7, s0, v0, v9
	v_add_co_ci_u32_e64 v8, s0, 0, v35, s0
	v_add_co_u32 v36, s0, v0, v5
	v_add_co_ci_u32_e64 v37, s0, 0, v35, s0
	;; [unrolled: 2-line block ×6, first 2 shown]
	s_clause 0xd
	global_load_dwordx2 v[11:12], v[7:8], off
	global_load_dwordx2 v[13:14], v[7:8], off offset:448
	global_load_dwordx2 v[15:16], v[7:8], off offset:896
	;; [unrolled: 1-line block ×13, first 2 shown]
	v_add_co_u32 v5, s0, 0x2800, v7
	v_add_co_ci_u32_e64 v6, s0, 0, v8, s0
	s_clause 0x9
	global_load_dwordx2 v[62:63], v[47:48], off offset:96
	global_load_dwordx2 v[27:28], v[27:28], off offset:1984
	;; [unrolled: 1-line block ×6, first 2 shown]
	global_load_dwordx2 v[38:39], v[36:37], off
	global_load_dwordx2 v[56:57], v[47:48], off offset:1888
	global_load_dwordx2 v[64:65], v[40:41], off offset:1504
	;; [unrolled: 1-line block ×3, first 2 shown]
	v_mov_b32_e32 v7, 0
	v_mov_b32_e32 v8, 0
	v_cmpx_gt_u32_e32 28, v82
; %bb.13:
	v_or_b32_e32 v7, 0x2a0, v82
	v_mov_b32_e32 v8, 0
	v_lshlrev_b64 v[7:8], 3, v[7:8]
	v_add_co_u32 v7, s0, v0, v7
	v_add_co_ci_u32_e64 v8, s0, v35, v8, s0
	s_clause 0x1
	global_load_dwordx2 v[7:8], v[7:8], off
	global_load_dwordx2 v[66:67], v[5:6], off offset:736
; %bb.14:
	s_or_b32 exec_lo, exec_lo, s4
.LBB0_15:
	s_or_b32 exec_lo, exec_lo, s1
	s_waitcnt vmcnt(19)
	v_sub_f32_e32 v36, v13, v60
	v_add_nc_u32_e32 v83, 56, v82
	s_waitcnt vmcnt(1)
	v_sub_f32_e32 v6, v11, v64
	v_sub_f32_e32 v37, v15, v58
	v_add_nc_u32_e32 v84, 0x70, v82
	v_fma_f32 v35, v13, 2.0, -v36
	v_lshl_add_u32 v64, v83, 3, 0
	v_sub_f32_e32 v41, v9, v23
	v_add_nc_u32_e32 v85, 0xa8, v82
	v_lshl_add_u32 v60, v82, 3, 0
	v_fma_f32 v5, v11, 2.0, -v6
	ds_write_b64 v64, v[35:36]
	v_fma_f32 v36, v15, 2.0, -v37
	v_lshl_add_u32 v79, v84, 3, 0
	v_fma_f32 v40, v9, 2.0, -v41
	v_lshl_add_u32 v78, v85, 3, 0
	ds_write_b64 v60, v[5:6]
	v_sub_f32_e32 v6, v43, v25
	v_add_nc_u32_e32 v86, 0xe0, v82
	v_sub_f32_e32 v42, v19, v29
	v_add_nc_u32_e32 v15, 0x118, v82
	ds_write_b64 v79, v[36:37]
	ds_write_b64 v78, v[40:41]
	v_sub_f32_e32 v36, v17, v62
	v_add_nc_u32_e32 v23, 0x150, v82
	v_sub_f32_e32 v48, v21, v31
	v_add_nc_u32_e32 v58, 0x188, v82
	v_fma_f32 v5, v43, 2.0, -v6
	v_lshl_add_u32 v25, v86, 3, 0
	v_fma_f32 v41, v19, 2.0, -v42
	v_lshl_add_u32 v31, v15, 3, 0
	;; [unrolled: 2-line block ×4, first 2 shown]
	ds_write_b64 v25, v[5:6]
	ds_write_b64 v31, v[41:42]
	v_sub_f32_e32 v37, v38, v45
	v_sub_f32_e32 v41, v27, v54
	v_add_nc_u32_e32 v17, 0x1f8, v82
	v_sub_f32_e32 v43, v33, v56
	v_add_nc_u32_e32 v21, 0x230, v82
	v_add_nc_u32_e32 v45, 0x268, v82
	s_waitcnt vmcnt(0)
	v_sub_f32_e32 v6, v7, v66
	v_add_nc_u32_e32 v13, 0x2a0, v82
	ds_write_b64 v29, v[35:36]
	ds_write_b64 v19, v[47:48]
	v_sub_f32_e32 v48, v50, v52
	v_fma_f32 v36, v38, 2.0, -v37
	v_lshl_add_u32 v54, v80, 3, 0
	v_fma_f32 v40, v27, 2.0, -v41
	v_lshl_add_u32 v27, v17, 3, 0
	;; [unrolled: 2-line block ×3, first 2 shown]
	v_lshl_add_u32 v56, v45, 3, 0
	v_fma_f32 v5, v7, 2.0, -v6
	v_cmp_gt_u32_e64 s0, 28, v82
	v_lshl_add_u32 v33, v13, 3, 0
	v_fma_f32 v47, v50, 2.0, -v48
	ds_write_b64 v54, v[36:37]
	ds_write_b64 v27, v[40:41]
	;; [unrolled: 1-line block ×4, first 2 shown]
	s_and_saveexec_b32 s1, s0
	s_cbranch_execz .LBB0_17
; %bb.16:
	ds_write_b64 v33, v[5:6]
.LBB0_17:
	s_or_b32 exec_lo, exec_lo, s1
	v_lshl_add_u32 v0, v82, 2, 0
	s_waitcnt lgkmcnt(0)
	s_barrier
	buffer_gl0_inv
	v_lshl_add_u32 v87, v80, 2, 0
	v_add_nc_u32_e32 v7, 0x800, v0
	v_add_nc_u32_e32 v9, 0xa00, v0
	;; [unrolled: 1-line block ×4, first 2 shown]
	ds_read2_b32 v[68:69], v0 offset1:56
	ds_read2_b32 v[49:50], v7 offset0:104 offset1:188
	ds_read2_b32 v[40:41], v9 offset0:116 offset1:172
	;; [unrolled: 1-line block ×4, first 2 shown]
	v_add_nc_u32_e32 v7, 0xe00, v0
	v_add_nc_u32_e32 v9, 0x400, v0
	;; [unrolled: 1-line block ×3, first 2 shown]
	ds_read2_b32 v[72:73], v37 offset0:96 offset1:152
	v_add_nc_u32_e32 v37, 0x600, v0
	ds_read2_b32 v[47:48], v7 offset0:84 offset1:140
	ds_read2_b32 v[76:77], v9 offset0:80 offset1:136
	;; [unrolled: 1-line block ×5, first 2 shown]
	ds_read_b32 v11, v87
	ds_read_b32 v7, v0 offset:5264
	s_and_saveexec_b32 s1, s0
	s_cbranch_execz .LBB0_19
; %bb.18:
	ds_read_b32 v5, v0 offset:2688
	ds_read_b32 v6, v0 offset:5488
.LBB0_19:
	s_or_b32 exec_lo, exec_lo, s1
	v_sub_f32_e32 v62, v12, v65
	v_sub_f32_e32 v9, v8, v67
	;; [unrolled: 1-line block ×6, first 2 shown]
	v_fma_f32 v61, v12, 2.0, -v62
	v_sub_f32_e32 v95, v20, v30
	v_sub_f32_e32 v97, v18, v63
	;; [unrolled: 1-line block ×7, first 2 shown]
	v_fma_f32 v8, v8, 2.0, -v9
	v_fma_f32 v65, v14, 2.0, -v66
	;; [unrolled: 1-line block ×12, first 2 shown]
	s_waitcnt lgkmcnt(0)
	s_barrier
	buffer_gl0_inv
	ds_write_b64 v60, v[61:62]
	ds_write_b64 v64, v[65:66]
	;; [unrolled: 1-line block ×12, first 2 shown]
	s_and_saveexec_b32 s1, s0
	s_cbranch_execz .LBB0_21
; %bb.20:
	ds_write_b64 v33, v[8:9]
.LBB0_21:
	s_or_b32 exec_lo, exec_lo, s1
	v_add_nc_u32_e32 v10, 0x800, v0
	v_add_nc_u32_e32 v12, 0xa00, v0
	;; [unrolled: 1-line block ×3, first 2 shown]
	s_waitcnt lgkmcnt(0)
	s_barrier
	buffer_gl0_inv
	ds_read2_b32 v[28:29], v0 offset1:56
	ds_read2_b32 v[18:19], v10 offset0:104 offset1:188
	ds_read2_b32 v[59:60], v12 offset0:116 offset1:172
	;; [unrolled: 1-line block ×4, first 2 shown]
	v_add_nc_u32_e32 v10, 0x200, v0
	v_add_nc_u32_e32 v12, 0xe00, v0
	;; [unrolled: 1-line block ×5, first 2 shown]
	ds_read2_b32 v[30:31], v10 offset0:96 offset1:152
	ds_read2_b32 v[63:64], v12 offset0:84 offset1:140
	;; [unrolled: 1-line block ×6, first 2 shown]
	ds_read_b32 v34, v87
	ds_read_b32 v100, v0 offset:5264
	v_lshlrev_b32_e32 v98, 1, v82
	v_lshlrev_b32_e32 v97, 1, v83
	;; [unrolled: 1-line block ×12, first 2 shown]
	s_and_saveexec_b32 s1, s0
	s_cbranch_execz .LBB0_23
; %bb.22:
	ds_read_b32 v8, v0 offset:2688
	ds_read_b32 v9, v0 offset:5488
.LBB0_23:
	s_or_b32 exec_lo, exec_lo, s1
	v_and_b32_e32 v39, 1, v82
	v_lshlrev_b32_e32 v46, 1, v13
	v_lshlrev_b32_e32 v10, 3, v39
	v_and_or_b32 v12, 0xfc, v97, v39
	v_and_or_b32 v44, 0x5fc, v67, v39
	;; [unrolled: 1-line block ×4, first 2 shown]
	global_load_dwordx2 v[80:81], v10, s[12:13]
	v_and_or_b32 v10, 0x7c, v98, v39
	v_and_or_b32 v15, 0x3fc, v94, v39
	;; [unrolled: 1-line block ×8, first 2 shown]
	v_lshl_add_u32 v101, v10, 2, 0
	v_lshl_add_u32 v102, v12, 2, 0
	v_lshl_add_u32 v112, v44, 2, 0
	v_lshl_add_u32 v103, v13, 2, 0
	v_lshl_add_u32 v104, v14, 2, 0
	v_lshl_add_u32 v105, v15, 2, 0
	v_lshl_add_u32 v106, v16, 2, 0
	v_lshl_add_u32 v107, v17, 2, 0
	v_lshl_add_u32 v108, v20, 2, 0
	v_lshl_add_u32 v109, v21, 2, 0
	v_lshl_add_u32 v110, v22, 2, 0
	v_lshl_add_u32 v111, v23, 2, 0
	s_waitcnt vmcnt(0) lgkmcnt(0)
	s_barrier
	buffer_gl0_inv
	v_mul_f32_e32 v10, v19, v81
	v_mul_f32_e32 v12, v59, v81
	;; [unrolled: 1-line block ×13, first 2 shown]
	v_fmac_f32_e32 v10, v50, v80
	v_fmac_f32_e32 v12, v40, v80
	;; [unrolled: 1-line block ×13, first 2 shown]
	v_sub_f32_e32 v10, v68, v10
	v_sub_f32_e32 v12, v69, v12
	;; [unrolled: 1-line block ×13, first 2 shown]
	v_fma_f32 v45, v68, 2.0, -v10
	v_fma_f32 v51, v69, 2.0, -v12
	;; [unrolled: 1-line block ×13, first 2 shown]
	ds_write2_b32 v101, v45, v10 offset1:2
	ds_write2_b32 v102, v51, v12 offset1:2
	;; [unrolled: 1-line block ×12, first 2 shown]
	s_and_saveexec_b32 s1, s0
	s_cbranch_execz .LBB0_25
; %bb.24:
	v_and_or_b32 v5, 0x57c, v46, v39
	v_lshl_add_u32 v5, v5, 2, 0
	ds_write2_b32 v5, v49, v99 offset1:2
.LBB0_25:
	s_or_b32 exec_lo, exec_lo, s1
	v_add_nc_u32_e32 v5, 0x800, v0
	v_add_nc_u32_e32 v10, 0xa00, v0
	v_add_nc_u32_e32 v11, 0xc00, v0
	s_waitcnt lgkmcnt(0)
	s_barrier
	buffer_gl0_inv
	ds_read2_b32 v[44:45], v0 offset1:56
	ds_read2_b32 v[20:21], v5 offset0:104 offset1:188
	ds_read2_b32 v[16:17], v10 offset0:116 offset1:172
	ds_read2_b32 v[51:52], v0 offset0:112 offset1:168
	ds_read2_b32 v[10:11], v11 offset0:100 offset1:156
	v_add_nc_u32_e32 v5, 0x200, v0
	v_add_nc_u32_e32 v12, 0xe00, v0
	;; [unrolled: 1-line block ×5, first 2 shown]
	ds_read2_b32 v[55:56], v5 offset0:96 offset1:152
	ds_read2_b32 v[22:23], v12 offset0:84 offset1:140
	;; [unrolled: 1-line block ×6, first 2 shown]
	ds_read_b32 v69, v87
	ds_read_b32 v68, v0 offset:5264
	s_and_saveexec_b32 s1, s0
	s_cbranch_execz .LBB0_27
; %bb.26:
	ds_read_b32 v49, v0 offset:2688
	ds_read_b32 v99, v0 offset:5488
.LBB0_27:
	s_or_b32 exec_lo, exec_lo, s1
	v_mul_f32_e32 v5, v50, v81
	v_mul_f32_e32 v40, v40, v81
	;; [unrolled: 1-line block ×5, first 2 shown]
	v_fma_f32 v5, v19, v80, -v5
	v_fma_f32 v40, v59, v80, -v40
	v_mul_f32_e32 v36, v36, v81
	v_mul_f32_e32 v19, v47, v81
	;; [unrolled: 1-line block ×8, first 2 shown]
	v_fma_f32 v6, v9, v80, -v6
	v_fma_f32 v41, v60, v80, -v41
	;; [unrolled: 1-line block ×3, first 2 shown]
	v_sub_f32_e32 v5, v28, v5
	v_sub_f32_e32 v48, v29, v40
	v_fma_f32 v36, v62, v80, -v36
	v_fma_f32 v19, v63, v80, -v19
	;; [unrolled: 1-line block ×8, first 2 shown]
	v_sub_f32_e32 v40, v8, v6
	v_sub_f32_e32 v41, v24, v41
	v_fma_f32 v9, v28, 2.0, -v5
	v_fma_f32 v28, v29, 2.0, -v48
	v_sub_f32_e32 v29, v25, v35
	v_sub_f32_e32 v35, v30, v36
	v_sub_f32_e32 v19, v31, v19
	v_sub_f32_e32 v36, v32, v47
	v_sub_f32_e32 v42, v33, v42
	v_sub_f32_e32 v43, v34, v43
	v_sub_f32_e32 v37, v26, v37
	v_sub_f32_e32 v38, v27, v38
	v_sub_f32_e32 v7, v18, v7
	v_fma_f32 v47, v8, 2.0, -v40
	v_fma_f32 v24, v24, 2.0, -v41
	;; [unrolled: 1-line block ×11, first 2 shown]
	s_waitcnt lgkmcnt(0)
	s_barrier
	buffer_gl0_inv
	ds_write2_b32 v101, v9, v5 offset1:2
	ds_write2_b32 v102, v28, v48 offset1:2
	;; [unrolled: 1-line block ×12, first 2 shown]
	s_and_saveexec_b32 s1, s0
	s_cbranch_execz .LBB0_29
; %bb.28:
	v_and_or_b32 v5, 0x57c, v46, v39
	v_lshl_add_u32 v5, v5, 2, 0
	ds_write2_b32 v5, v47, v40 offset1:2
.LBB0_29:
	s_or_b32 exec_lo, exec_lo, s1
	v_add_nc_u32_e32 v5, 0x800, v0
	v_add_nc_u32_e32 v18, 0xa00, v0
	;; [unrolled: 1-line block ×3, first 2 shown]
	s_waitcnt lgkmcnt(0)
	s_barrier
	buffer_gl0_inv
	ds_read2_b32 v[8:9], v0 offset1:56
	ds_read2_b32 v[6:7], v5 offset0:104 offset1:188
	ds_read2_b32 v[28:29], v18 offset0:116 offset1:172
	;; [unrolled: 1-line block ×4, first 2 shown]
	v_add_nc_u32_e32 v5, 0x200, v0
	v_add_nc_u32_e32 v26, 0xe00, v0
	;; [unrolled: 1-line block ×5, first 2 shown]
	ds_read2_b32 v[24:25], v5 offset0:96 offset1:152
	ds_read2_b32 v[36:37], v26 offset0:84 offset1:140
	ds_read2_b32 v[26:27], v27 offset0:80 offset1:136
	ds_read2_b32 v[32:33], v34 offset0:68 offset1:124
	ds_read2_b32 v[41:42], v35 offset0:120 offset1:176
	ds_read2_b32 v[34:35], v34 offset0:180 offset1:236
	ds_read_b32 v43, v87
	ds_read_b32 v50, v0 offset:5264
	s_and_saveexec_b32 s1, s0
	s_cbranch_execz .LBB0_31
; %bb.30:
	ds_read_b32 v47, v0 offset:2688
	ds_read_b32 v40, v0 offset:5488
.LBB0_31:
	s_or_b32 exec_lo, exec_lo, s1
	v_and_b32_e32 v48, 3, v82
	v_lshlrev_b32_e32 v5, 3, v48
	v_and_or_b32 v70, 0x3f8, v90, v48
	v_and_or_b32 v71, 0x7f8, v89, v48
	;; [unrolled: 1-line block ×4, first 2 shown]
	global_load_dwordx2 v[38:39], v5, s[12:13] offset:16
	v_and_or_b32 v5, 0x78, v98, v48
	v_lshl_add_u32 v67, v70, 2, 0
	v_lshl_add_u32 v70, v71, 2, 0
	;; [unrolled: 1-line block ×5, first 2 shown]
	v_and_or_b32 v60, 0xf8, v97, v48
	v_and_or_b32 v61, 0x1f8, v96, v48
	v_and_or_b32 v62, 0x1f8, v95, v48
	v_and_or_b32 v63, 0x3f8, v94, v48
	v_and_or_b32 v64, 0x2f8, v93, v48
	v_and_or_b32 v65, 0x3f8, v92, v48
	v_and_or_b32 v66, 0x3f8, v91, v48
	v_lshl_add_u32 v60, v60, 2, 0
	v_lshl_add_u32 v61, v61, 2, 0
	;; [unrolled: 1-line block ×7, first 2 shown]
	s_waitcnt vmcnt(0) lgkmcnt(0)
	s_barrier
	buffer_gl0_inv
	v_mul_f32_e32 v5, v7, v39
	v_mul_f32_e32 v73, v28, v39
	;; [unrolled: 1-line block ×13, first 2 shown]
	v_fmac_f32_e32 v5, v21, v38
	v_fmac_f32_e32 v73, v16, v38
	;; [unrolled: 1-line block ×13, first 2 shown]
	v_sub_f32_e32 v90, v44, v5
	v_sub_f32_e32 v73, v45, v73
	;; [unrolled: 1-line block ×13, first 2 shown]
	v_fma_f32 v44, v44, 2.0, -v90
	v_fma_f32 v45, v45, 2.0, -v73
	;; [unrolled: 1-line block ×12, first 2 shown]
	ds_write2_b32 v59, v44, v90 offset1:4
	ds_write2_b32 v60, v45, v73 offset1:4
	;; [unrolled: 1-line block ×12, first 2 shown]
	s_and_saveexec_b32 s1, s0
	s_cbranch_execz .LBB0_33
; %bb.32:
	v_and_or_b32 v20, 0x578, v46, v48
	v_fma_f32 v44, v49, 2.0, -v5
	v_lshl_add_u32 v20, v20, 2, 0
	ds_write2_b32 v20, v44, v5 offset1:4
.LBB0_33:
	s_or_b32 exec_lo, exec_lo, s1
	v_mul_f32_e32 v20, v21, v39
	v_mul_f32_e32 v15, v15, v39
	;; [unrolled: 1-line block ×5, first 2 shown]
	v_fma_f32 v7, v7, v38, -v20
	v_mul_f32_e32 v20, v22, v39
	v_mul_f32_e32 v21, v23, v39
	;; [unrolled: 1-line block ×3, first 2 shown]
	v_fma_f32 v15, v33, v38, -v15
	v_mul_f32_e32 v16, v16, v39
	v_fma_f32 v17, v29, v38, -v17
	v_fma_f32 v10, v30, v38, -v10
	;; [unrolled: 1-line block ×5, first 2 shown]
	v_mul_f32_e32 v13, v13, v39
	v_mul_f32_e32 v22, v68, v39
	v_fma_f32 v14, v32, v38, -v14
	v_sub_f32_e32 v73, v43, v15
	v_fma_f32 v16, v28, v38, -v16
	v_mul_f32_e32 v12, v12, v39
	v_fma_f32 v13, v35, v38, -v13
	v_fma_f32 v22, v50, v38, -v22
	v_mul_f32_e32 v23, v99, v39
	v_sub_f32_e32 v50, v8, v7
	v_sub_f32_e32 v52, v18, v17
	;; [unrolled: 1-line block ×7, first 2 shown]
	v_add_nc_u32_e32 v11, 0x200, v0
	v_add_nc_u32_e32 v44, 0xc00, v0
	;; [unrolled: 1-line block ×4, first 2 shown]
	v_fma_f32 v77, v43, 2.0, -v73
	v_add_nc_u32_e32 v43, 0x1000, v0
	v_add_nc_u32_e32 v45, 0x400, v0
	;; [unrolled: 1-line block ×3, first 2 shown]
	v_fma_f32 v12, v34, v38, -v12
	v_sub_f32_e32 v51, v9, v16
	v_fma_f32 v23, v40, v38, -v23
	v_fma_f32 v54, v8, 2.0, -v50
	v_fma_f32 v56, v18, 2.0, -v52
	;; [unrolled: 1-line block ×6, first 2 shown]
	v_sub_f32_e32 v78, v42, v13
	s_waitcnt lgkmcnt(0)
	s_barrier
	buffer_gl0_inv
	ds_read2_b32 v[14:15], v0 offset1:56
	ds_read2_b32 v[7:8], v11 offset0:96 offset1:152
	ds_read2_b32 v[39:40], v10 offset0:48 offset1:104
	;; [unrolled: 1-line block ×11, first 2 shown]
	ds_read_b32 v13, v0 offset:5376
	v_fma_f32 v55, v9, 2.0, -v51
	v_sub_f32_e32 v12, v41, v12
	v_sub_f32_e32 v22, v6, v22
	;; [unrolled: 1-line block ×3, first 2 shown]
	v_fma_f32 v24, v24, 2.0, -v58
	v_fma_f32 v42, v42, 2.0, -v78
	;; [unrolled: 1-line block ×4, first 2 shown]
	s_waitcnt lgkmcnt(0)
	s_barrier
	buffer_gl0_inv
	ds_write2_b32 v59, v54, v50 offset1:4
	ds_write2_b32 v60, v55, v51 offset1:4
	;; [unrolled: 1-line block ×12, first 2 shown]
	s_and_saveexec_b32 s1, s0
	s_cbranch_execz .LBB0_35
; %bb.34:
	v_and_or_b32 v6, 0x578, v46, v48
	v_fma_f32 v12, v47, 2.0, -v9
	v_lshl_add_u32 v6, v6, 2, 0
	ds_write2_b32 v6, v12, v9 offset1:4
.LBB0_35:
	s_or_b32 exec_lo, exec_lo, s1
	v_and_b32_e32 v6, 7, v82
	s_waitcnt lgkmcnt(0)
	s_barrier
	buffer_gl0_inv
	v_lshrrev_b32_e32 v41, 3, v82
	v_lshlrev_b32_e32 v12, 5, v6
	v_lshrrev_b32_e32 v42, 3, v83
	v_lshrrev_b32_e32 v46, 3, v84
	;; [unrolled: 1-line block ×4, first 2 shown]
	s_clause 0x1
	global_load_dwordx4 v[52:55], v12, s[12:13] offset:48
	global_load_dwordx4 v[95:98], v12, s[12:13] offset:64
	ds_read2_b32 v[21:22], v0 offset1:56
	ds_read2_b32 v[11:12], v11 offset0:96 offset1:152
	ds_read2_b32 v[56:57], v10 offset0:48 offset1:104
	;; [unrolled: 1-line block ×11, first 2 shown]
	ds_read_b32 v20, v0 offset:5376
	v_mul_u32_u24_e32 v41, 40, v41
	v_mul_u32_u24_e32 v42, 40, v42
	;; [unrolled: 1-line block ×5, first 2 shown]
	v_or_b32_e32 v41, v41, v6
	v_or_b32_e32 v42, v42, v6
	;; [unrolled: 1-line block ×5, first 2 shown]
	v_lshl_add_u32 v48, v41, 2, 0
	v_lshl_add_u32 v47, v42, 2, 0
	s_waitcnt vmcnt(0) lgkmcnt(0)
	v_lshl_add_u32 v42, v49, 2, 0
	v_lshl_add_u32 v41, v6, 2, 0
	s_barrier
	buffer_gl0_inv
	v_lshl_add_u32 v46, v46, 2, 0
	v_cmp_gt_u32_e64 s0, 32, v82
	v_mul_f32_e32 v81, v12, v53
	v_mul_f32_e32 v87, v56, v55
	;; [unrolled: 1-line block ×32, first 2 shown]
	v_fmac_f32_e32 v87, v39, v54
	v_fmac_f32_e32 v73, v40, v54
	v_mul_f32_e32 v39, v18, v55
	v_mul_f32_e32 v50, v110, v96
	v_fma_f32 v92, v56, v54, -v58
	v_mul_f32_e32 v56, v20, v98
	v_fmac_f32_e32 v90, v37, v97
	v_fmac_f32_e32 v77, v38, v97
	v_mul_f32_e32 v37, v13, v98
	v_fmac_f32_e32 v76, v35, v52
	v_fmac_f32_e32 v68, v36, v52
	;; [unrolled: 1-line block ×10, first 2 shown]
	v_mul_f32_e32 v88, v33, v96
	v_mul_f32_e32 v116, v25, v96
	v_fmac_f32_e32 v60, v27, v52
	v_fmac_f32_e32 v62, v30, v97
	v_mul_f32_e32 v112, v34, v96
	v_fma_f32 v78, v57, v54, -v78
	v_mul_f32_e32 v40, v26, v96
	v_fma_f32 v91, v63, v97, -v72
	v_fma_f32 v79, v64, v97, -v79
	;; [unrolled: 1-line block ×11, first 2 shown]
	v_fmac_f32_e32 v51, v28, v52
	v_fma_f32 v53, v108, v52, -v53
	v_fmac_f32_e32 v49, v18, v54
	v_fma_f32 v54, v99, v54, -v39
	v_fmac_f32_e32 v50, v26, v95
	v_fmac_f32_e32 v56, v13, v97
	v_fma_f32 v52, v20, v97, -v37
	v_add_f32_e32 v13, v87, v89
	v_sub_f32_e32 v26, v87, v81
	v_sub_f32_e32 v27, v89, v90
	v_add_f32_e32 v29, v73, v75
	v_sub_f32_e32 v32, v76, v73
	v_sub_f32_e32 v33, v77, v75
	v_add_f32_e32 v34, v76, v77
	v_sub_f32_e32 v35, v73, v76
	v_sub_f32_e32 v36, v75, v77
	v_sub_f32_e32 v57, v68, v66
	v_sub_f32_e32 v58, v69, v67
	;; [unrolled: 1-line block ×4, first 2 shown]
	v_add_f32_e32 v99, v59, v61
	v_add_f32_e32 v25, v81, v90
	v_fma_f32 v88, v101, v95, -v88
	v_fma_f32 v64, v109, v95, -v116
	v_add_f32_e32 v28, v15, v76
	v_add_f32_e32 v38, v66, v67
	;; [unrolled: 1-line block ×3, first 2 shown]
	v_fma_f32 v72, v102, v95, -v112
	v_fma_f32 v55, v110, v95, -v40
	v_add_f32_e32 v6, v14, v81
	v_sub_f32_e32 v18, v94, v91
	v_sub_f32_e32 v8, v81, v87
	;; [unrolled: 1-line block ×3, first 2 shown]
	v_add_f32_e32 v37, v16, v68
	v_add_f32_e32 v95, v68, v69
	;; [unrolled: 1-line block ×6, first 2 shown]
	v_sub_f32_e32 v33, v49, v51
	v_fma_f32 v29, -0.5, v29, v15
	v_fmac_f32_e32 v15, -0.5, v34
	v_sub_f32_e32 v34, v50, v56
	v_add_f32_e32 v35, v35, v36
	v_add_f32_e32 v36, v57, v58
	v_add_f32_e32 v57, v96, v97
	v_fma_f32 v96, -0.5, v99, v17
	v_fma_f32 v99, -0.5, v13, v14
	v_sub_f32_e32 v19, v92, v93
	v_fma_f32 v25, -0.5, v25, v14
	v_sub_f32_e32 v30, v80, v79
	v_sub_f32_e32 v102, v60, v59
	;; [unrolled: 1-line block ×5, first 2 shown]
	v_add_f32_e32 v98, v17, v60
	v_sub_f32_e32 v101, v63, v64
	v_sub_f32_e32 v105, v59, v60
	;; [unrolled: 1-line block ×3, first 2 shown]
	v_add_f32_e32 v107, v7, v51
	v_fmac_f32_e32 v17, -0.5, v104
	v_add_f32_e32 v13, v28, v73
	v_fma_f32 v28, -0.5, v38, v16
	v_sub_f32_e32 v40, v71, v72
	v_sub_f32_e32 v100, v12, v65
	v_sub_f32_e32 v109, v53, v52
	v_sub_f32_e32 v110, v54, v55
	v_add_f32_e32 v20, v8, v20
	v_fma_f32 v8, -0.5, v108, v7
	v_add_f32_e32 v6, v6, v87
	v_add_f32_e32 v14, v37, v66
	v_fma_f32 v16, -0.5, v95, v16
	v_fmac_f32_e32 v7, -0.5, v27
	v_add_f32_e32 v27, v33, v34
	v_fmamk_f32 v33, v18, 0xbf737871, v99
	v_fmamk_f32 v34, v19, 0x3f737871, v25
	v_fmac_f32_e32 v25, 0xbf737871, v19
	v_fmac_f32_e32 v99, 0x3f737871, v18
	v_add_f32_e32 v58, v102, v103
	v_fmamk_f32 v102, v30, 0xbf737871, v29
	v_add_f32_e32 v97, v105, v106
	v_add_f32_e32 v37, v98, v59
	;; [unrolled: 1-line block ×3, first 2 shown]
	v_fmac_f32_e32 v29, 0x3f737871, v30
	v_fmamk_f32 v103, v31, 0x3f737871, v15
	v_fmac_f32_e32 v15, 0xbf737871, v31
	v_fmamk_f32 v105, v39, 0xbf737871, v28
	;; [unrolled: 2-line block ×3, first 2 shown]
	v_fmac_f32_e32 v17, 0xbf737871, v101
	v_sub_f32_e32 v111, v51, v49
	v_sub_f32_e32 v112, v56, v50
	v_add_f32_e32 v6, v6, v89
	v_add_f32_e32 v98, v13, v75
	;; [unrolled: 1-line block ×3, first 2 shown]
	v_fmamk_f32 v106, v40, 0x3f737871, v16
	v_fmac_f32_e32 v16, 0xbf737871, v40
	v_fmamk_f32 v107, v100, 0xbf737871, v96
	v_fmac_f32_e32 v96, 0x3f737871, v100
	;; [unrolled: 2-line block ×4, first 2 shown]
	v_fmac_f32_e32 v33, 0xbf167918, v19
	v_fmac_f32_e32 v34, 0xbf167918, v18
	;; [unrolled: 1-line block ×5, first 2 shown]
	v_add_f32_e32 v37, v37, v61
	v_add_f32_e32 v38, v38, v50
	v_fmac_f32_e32 v29, 0x3f167918, v31
	v_fmac_f32_e32 v103, 0xbf167918, v30
	v_fmac_f32_e32 v15, 0x3f167918, v30
	v_fmac_f32_e32 v28, 0x3f167918, v40
	v_fmac_f32_e32 v17, 0x3f167918, v100
	v_add_f32_e32 v95, v111, v112
	v_fmac_f32_e32 v105, 0xbf167918, v40
	v_fmac_f32_e32 v106, 0xbf167918, v39
	v_fmac_f32_e32 v16, 0x3f167918, v39
	v_fmac_f32_e32 v107, 0xbf167918, v101
	v_fmac_f32_e32 v96, 0x3f167918, v101
	;; [unrolled: 6-line block ×3, first 2 shown]
	v_fmac_f32_e32 v33, 0x3e9e377a, v20
	v_fmac_f32_e32 v34, 0x3e9e377a, v26
	;; [unrolled: 1-line block ×4, first 2 shown]
	v_add_f32_e32 v18, v98, v77
	v_fmac_f32_e32 v102, 0x3e9e377a, v32
	v_add_f32_e32 v19, v104, v69
	v_add_f32_e32 v30, v37, v62
	;; [unrolled: 1-line block ×3, first 2 shown]
	v_fmac_f32_e32 v29, 0x3e9e377a, v32
	v_fmac_f32_e32 v103, 0x3e9e377a, v35
	;; [unrolled: 1-line block ×15, first 2 shown]
	ds_write2_b32 v48, v6, v33 offset1:8
	ds_write2_b32 v48, v34, v25 offset0:16 offset1:24
	ds_write_b32 v48, v99 offset:128
	ds_write2_b32 v47, v18, v102 offset1:8
	ds_write2_b32 v47, v103, v15 offset0:16 offset1:24
	ds_write_b32 v47, v29 offset:128
	;; [unrolled: 3-line block ×5, first 2 shown]
	s_waitcnt lgkmcnt(0)
	s_barrier
	buffer_gl0_inv
	ds_read2_b32 v[19:20], v0 offset1:56
	ds_read2_b32 v[17:18], v0 offset0:112 offset1:200
	ds_read2_b32 v[39:40], v45 offset0:144 offset1:200
	ds_read2_b32 v[35:36], v10 offset1:88
	ds_read2_b32 v[33:34], v44 offset0:32 offset1:88
	ds_read2_b32 v[25:26], v44 offset0:144 offset1:232
	;; [unrolled: 1-line block ×3, first 2 shown]
	ds_read2_b32 v[37:38], v45 offset1:56
	ds_read2_b32 v[29:30], v10 offset0:144 offset1:200
	ds_read2_b32 v[27:28], v43 offset0:32 offset1:88
	ds_read_b32 v58, v0 offset:5248
                                        ; implicit-def: $vgpr57
	s_and_saveexec_b32 s1, s0
	s_cbranch_execz .LBB0_37
; %bb.36:
	v_add_nc_u32_e32 v5, 0x200, v0
	v_add_nc_u32_e32 v6, 0x880, v0
	;; [unrolled: 1-line block ×3, first 2 shown]
	ds_read2_b32 v[13:14], v5 offset0:40 offset1:240
	ds_read2_b32 v[7:8], v6 offset0:24 offset1:224
	;; [unrolled: 1-line block ×3, first 2 shown]
	ds_read_b32 v57, v0 offset:5472
.LBB0_37:
	s_or_b32 exec_lo, exec_lo, s1
	v_add_f32_e32 v15, v21, v94
	v_add_f32_e32 v10, v92, v93
	v_sub_f32_e32 v16, v81, v90
	v_sub_f32_e32 v43, v87, v89
	v_add_f32_e32 v81, v94, v91
	v_add_f32_e32 v15, v15, v92
	v_fma_f32 v10, -0.5, v10, v21
	v_sub_f32_e32 v87, v92, v94
	v_sub_f32_e32 v90, v93, v91
	;; [unrolled: 1-line block ×3, first 2 shown]
	v_add_f32_e32 v15, v15, v93
	v_sub_f32_e32 v45, v91, v93
	v_fmamk_f32 v89, v16, 0x3f737871, v10
	v_fma_f32 v21, -0.5, v81, v21
	v_fmac_f32_e32 v10, 0xbf737871, v16
	v_add_f32_e32 v91, v15, v91
	v_add_f32_e32 v15, v87, v90
	;; [unrolled: 1-line block ×4, first 2 shown]
	v_fmac_f32_e32 v89, 0x3f167918, v43
	v_fmamk_f32 v45, v43, 0xbf737871, v21
	v_fmac_f32_e32 v10, 0xbf167918, v43
	v_fmac_f32_e32 v21, 0x3f737871, v43
	v_add_f32_e32 v43, v87, v78
	v_add_f32_e32 v81, v78, v88
	v_fmac_f32_e32 v45, 0x3f167918, v16
	v_sub_f32_e32 v76, v76, v77
	v_sub_f32_e32 v73, v73, v75
	;; [unrolled: 1-line block ×4, first 2 shown]
	v_fmac_f32_e32 v21, 0xbf167918, v16
	v_add_f32_e32 v16, v43, v88
	v_fma_f32 v81, -0.5, v81, v22
	v_fmac_f32_e32 v45, 0x3e9e377a, v15
	v_add_f32_e32 v87, v80, v79
	v_add_f32_e32 v43, v75, v77
	v_fmac_f32_e32 v21, 0x3e9e377a, v15
	v_add_f32_e32 v75, v16, v79
	v_sub_f32_e32 v15, v78, v80
	v_sub_f32_e32 v16, v88, v79
	v_add_f32_e32 v78, v23, v70
	v_fmac_f32_e32 v89, 0x3e9e377a, v44
	v_fmac_f32_e32 v10, 0x3e9e377a, v44
	v_fmamk_f32 v44, v76, 0x3f737871, v81
	v_fmac_f32_e32 v22, -0.5, v87
	v_fmac_f32_e32 v81, 0xbf737871, v76
	v_add_f32_e32 v79, v71, v72
	v_add_f32_e32 v15, v15, v16
	v_add_f32_e32 v16, v78, v71
	v_fmac_f32_e32 v44, 0x3f167918, v73
	v_fmamk_f32 v77, v73, 0xbf737871, v22
	v_fmac_f32_e32 v81, 0xbf167918, v73
	v_fmac_f32_e32 v22, 0x3f737871, v73
	v_fma_f32 v73, -0.5, v79, v23
	v_sub_f32_e32 v68, v68, v69
	v_add_f32_e32 v16, v16, v72
	v_add_f32_e32 v69, v70, v74
	v_fmac_f32_e32 v44, 0x3e9e377a, v43
	v_fmac_f32_e32 v77, 0x3f167918, v76
	;; [unrolled: 1-line block ×4, first 2 shown]
	v_fmamk_f32 v43, v68, 0x3f737871, v73
	v_sub_f32_e32 v66, v66, v67
	v_sub_f32_e32 v67, v70, v71
	;; [unrolled: 1-line block ×3, first 2 shown]
	v_fma_f32 v23, -0.5, v69, v23
	v_add_f32_e32 v69, v16, v74
	v_fmac_f32_e32 v73, 0xbf737871, v68
	v_sub_f32_e32 v16, v71, v70
	v_sub_f32_e32 v70, v72, v74
	v_add_f32_e32 v71, v63, v64
	v_fmac_f32_e32 v77, 0x3e9e377a, v15
	v_fmac_f32_e32 v22, 0x3e9e377a, v15
	;; [unrolled: 1-line block ×3, first 2 shown]
	v_add_f32_e32 v15, v67, v76
	v_fmamk_f32 v67, v66, 0xbf737871, v23
	v_fmac_f32_e32 v73, 0xbf167918, v66
	v_add_f32_e32 v16, v16, v70
	v_fmac_f32_e32 v23, 0x3f737871, v66
	v_add_f32_e32 v66, v24, v12
	v_fma_f32 v70, -0.5, v71, v24
	v_sub_f32_e32 v60, v60, v62
	v_fmac_f32_e32 v43, 0x3e9e377a, v15
	v_fmac_f32_e32 v67, 0x3f167918, v68
	;; [unrolled: 1-line block ×4, first 2 shown]
	v_add_f32_e32 v15, v66, v63
	v_fmamk_f32 v62, v60, 0x3f737871, v70
	v_sub_f32_e32 v59, v59, v61
	v_sub_f32_e32 v61, v12, v63
	v_sub_f32_e32 v66, v65, v64
	v_fmac_f32_e32 v70, 0xbf737871, v60
	v_add_f32_e32 v68, v12, v65
	v_fmac_f32_e32 v62, 0x3f167918, v59
	v_add_f32_e32 v15, v15, v64
	v_add_f32_e32 v61, v61, v66
	v_fmac_f32_e32 v70, 0xbf167918, v59
	v_fmac_f32_e32 v24, -0.5, v68
	v_fmac_f32_e32 v67, 0x3e9e377a, v16
	v_fmac_f32_e32 v23, 0x3e9e377a, v16
	;; [unrolled: 1-line block ×4, first 2 shown]
	v_fmamk_f32 v61, v59, 0xbf737871, v24
	v_fmac_f32_e32 v24, 0x3f737871, v59
	v_add_f32_e32 v59, v11, v53
	v_add_f32_e32 v66, v15, v65
	;; [unrolled: 1-line block ×3, first 2 shown]
	v_sub_f32_e32 v16, v63, v12
	v_sub_f32_e32 v63, v64, v65
	;; [unrolled: 1-line block ×3, first 2 shown]
	v_add_f32_e32 v56, v59, v54
	v_add_f32_e32 v59, v53, v52
	v_fma_f32 v12, -0.5, v15, v11
	v_fmac_f32_e32 v61, 0x3f167918, v60
	v_add_f32_e32 v16, v16, v63
	v_fmac_f32_e32 v24, 0xbf167918, v60
	v_sub_f32_e32 v49, v49, v50
	v_fmac_f32_e32 v11, -0.5, v59
	v_fmamk_f32 v15, v51, 0x3f737871, v12
	v_fmac_f32_e32 v61, 0x3e9e377a, v16
	v_fmac_f32_e32 v24, 0x3e9e377a, v16
	v_add_f32_e32 v50, v56, v55
	v_sub_f32_e32 v56, v53, v54
	v_sub_f32_e32 v59, v52, v55
	v_fmac_f32_e32 v12, 0xbf737871, v51
	v_fmamk_f32 v16, v49, 0xbf737871, v11
	v_sub_f32_e32 v53, v54, v53
	v_sub_f32_e32 v54, v55, v52
	v_fmac_f32_e32 v11, 0x3f737871, v49
	v_fmac_f32_e32 v15, 0x3f167918, v49
	v_add_f32_e32 v55, v56, v59
	v_fmac_f32_e32 v12, 0xbf167918, v49
	v_fmac_f32_e32 v16, 0x3f167918, v51
	v_add_f32_e32 v49, v53, v54
	v_fmac_f32_e32 v11, 0xbf167918, v51
	v_add_f32_e32 v50, v50, v52
	v_fmac_f32_e32 v15, 0x3e9e377a, v55
	v_fmac_f32_e32 v12, 0x3e9e377a, v55
	;; [unrolled: 1-line block ×4, first 2 shown]
	s_waitcnt lgkmcnt(0)
	s_barrier
	buffer_gl0_inv
	ds_write2_b32 v48, v91, v89 offset1:8
	ds_write2_b32 v48, v45, v21 offset0:16 offset1:24
	ds_write_b32 v48, v10 offset:128
	ds_write2_b32 v47, v75, v44 offset1:8
	ds_write2_b32 v47, v77, v22 offset0:16 offset1:24
	ds_write_b32 v47, v81 offset:128
	;; [unrolled: 3-line block ×5, first 2 shown]
	v_add_nc_u32_e32 v10, 0x400, v0
	v_add_nc_u32_e32 v43, 0x800, v0
	;; [unrolled: 1-line block ×4, first 2 shown]
	s_waitcnt lgkmcnt(0)
	s_barrier
	buffer_gl0_inv
	ds_read2_b32 v[23:24], v0 offset1:56
	ds_read2_b32 v[21:22], v0 offset0:112 offset1:200
	ds_read2_b32 v[55:56], v10 offset0:144 offset1:200
	ds_read2_b32 v[51:52], v43 offset1:88
	ds_read2_b32 v[49:50], v41 offset0:32 offset1:88
	ds_read2_b32 v[41:42], v41 offset0:144 offset1:232
	ds_read2_b32 v[47:48], v44 offset0:176 offset1:232
	ds_read2_b32 v[53:54], v10 offset1:56
	ds_read2_b32 v[45:46], v43 offset0:144 offset1:200
	ds_read2_b32 v[43:44], v44 offset0:32 offset1:88
	ds_read_b32 v60, v0 offset:5248
                                        ; implicit-def: $vgpr59
	s_and_saveexec_b32 s1, s0
	s_cbranch_execz .LBB0_39
; %bb.38:
	v_add_nc_u32_e32 v9, 0x200, v0
	v_add_nc_u32_e32 v10, 0x880, v0
	v_add_nc_u32_e32 v59, 0xf00, v0
	ds_read2_b32 v[15:16], v9 offset0:40 offset1:240
	ds_read2_b32 v[11:12], v10 offset0:24 offset1:224
	;; [unrolled: 1-line block ×3, first 2 shown]
	ds_read_b32 v59, v0 offset:5472
.LBB0_39:
	s_or_b32 exec_lo, exec_lo, s1
	v_and_b32_e32 v64, 0xff, v83
	v_and_b32_e32 v65, 0xff, v84
	v_subrev_nc_u32_e32 v61, 40, v82
	v_cmp_gt_u32_e64 s1, 40, v82
	v_mov_b32_e32 v62, 0
	v_mul_lo_u16 v64, 0xcd, v64
	v_mul_lo_u16 v65, 0xcd, v65
	v_mov_b32_e32 v71, 6
	v_cndmask_b32_e64 v63, v61, v82, s1
	v_lshrrev_b16 v64, 13, v64
	v_lshrrev_b16 v69, 13, v65
	v_mul_i32_i24_e32 v61, 6, v63
	v_lshlrev_b32_e32 v63, 2, v63
	v_mul_lo_u16 v70, v64, 40
	v_mul_lo_u16 v72, v69, 40
	v_lshlrev_b64 v[61:62], 3, v[61:62]
	v_sub_nc_u16 v70, v83, v70
	v_sub_nc_u16 v72, v84, v72
	v_add_co_u32 v61, s1, s12, v61
	v_mul_u32_u24_sdwa v73, v70, v71 dst_sel:DWORD dst_unused:UNUSED_PAD src0_sel:BYTE_0 src1_sel:DWORD
	v_mul_u32_u24_sdwa v71, v72, v71 dst_sel:DWORD dst_unused:UNUSED_PAD src0_sel:BYTE_0 src1_sel:DWORD
	v_add_co_ci_u32_e64 v62, s1, s13, v62, s1
	v_cmp_lt_u32_e64 s1, 39, v82
	v_lshlrev_b32_e32 v73, 3, v73
	v_lshlrev_b32_e32 v71, 3, v71
	s_clause 0x5
	global_load_dwordx4 v[65:68], v[61:62], off offset:304
	global_load_dwordx4 v[87:90], v[61:62], off offset:320
	global_load_dwordx4 v[91:94], v73, s[12:13] offset:304
	global_load_dwordx4 v[95:98], v71, s[12:13] offset:304
	global_load_dwordx4 v[99:102], v[61:62], off offset:336
	global_load_dwordx4 v[103:106], v73, s[12:13] offset:320
	v_and_b32_e32 v61, 0xff, v85
	s_clause 0x2
	global_load_dwordx4 v[107:110], v73, s[12:13] offset:336
	global_load_dwordx4 v[111:114], v71, s[12:13] offset:320
	global_load_dwordx4 v[115:118], v71, s[12:13] offset:336
	v_mov_b32_e32 v71, 2
	v_mul_lo_u16 v61, 0xcd, v61
	v_cndmask_b32_e64 v73, 0, 0x460, s1
	v_lshrrev_b16 v61, 13, v61
	v_mul_lo_u16 v61, v61, 40
	v_sub_nc_u16 v61, v85, v61
	v_and_b32_e32 v61, 0xff, v61
	v_mul_u32_u24_e32 v62, 6, v61
	v_lshl_add_u32 v61, v61, 2, 0
	v_lshlrev_b32_e32 v62, 3, v62
	s_clause 0x2
	global_load_dwordx4 v[119:122], v62, s[12:13] offset:304
	global_load_dwordx4 v[123:126], v62, s[12:13] offset:320
	;; [unrolled: 1-line block ×3, first 2 shown]
	v_mov_b32_e32 v62, 0x460
	s_waitcnt vmcnt(0) lgkmcnt(0)
	s_barrier
	buffer_gl0_inv
	v_mul_u32_u24_sdwa v74, v64, v62 dst_sel:DWORD dst_unused:UNUSED_PAD src0_sel:WORD_0 src1_sel:DWORD
	v_mul_u32_u24_sdwa v62, v69, v62 dst_sel:DWORD dst_unused:UNUSED_PAD src0_sel:WORD_0 src1_sel:DWORD
	v_lshlrev_b32_sdwa v69, v71, v70 dst_sel:DWORD dst_unused:UNUSED_PAD src0_sel:DWORD src1_sel:BYTE_0
	v_lshlrev_b32_sdwa v70, v71, v72 dst_sel:DWORD dst_unused:UNUSED_PAD src0_sel:DWORD src1_sel:BYTE_0
	v_add3_u32 v64, 0, v73, v63
	v_add3_u32 v63, 0, v74, v69
	;; [unrolled: 1-line block ×3, first 2 shown]
	v_mul_f32_e32 v73, v22, v66
	v_mul_f32_e32 v66, v18, v66
	;; [unrolled: 1-line block ×8, first 2 shown]
	v_fmac_f32_e32 v73, v18, v65
	v_fma_f32 v77, v22, v65, -v66
	v_fmac_f32_e32 v74, v36, v87
	v_fmac_f32_e32 v75, v33, v89
	v_mul_f32_e32 v65, v56, v94
	v_mul_f32_e32 v33, v40, v94
	;; [unrolled: 1-line block ×3, first 2 shown]
	v_fmac_f32_e32 v72, v39, v67
	v_mul_f32_e32 v66, v53, v92
	v_mul_f32_e32 v22, v54, v96
	;; [unrolled: 1-line block ×6, first 2 shown]
	v_fma_f32 v78, v55, v67, -v68
	v_fma_f32 v76, v52, v87, -v69
	;; [unrolled: 1-line block ×3, first 2 shown]
	v_mul_f32_e32 v87, v35, v98
	v_mul_f32_e32 v88, v26, v100
	;; [unrolled: 1-line block ×3, first 2 shown]
	v_fmac_f32_e32 v65, v40, v93
	v_mul_f32_e32 v68, v45, v104
	v_mul_f32_e32 v40, v29, v104
	v_fma_f32 v69, v56, v93, -v33
	v_mul_f32_e32 v56, v43, v108
	v_mul_f32_e32 v33, v27, v108
	v_fma_f32 v71, v53, v91, -v36
	v_mul_f32_e32 v70, v48, v110
	v_mul_f32_e32 v36, v32, v110
	;; [unrolled: 1-line block ×4, first 2 shown]
	v_fmac_f32_e32 v66, v37, v91
	v_mul_f32_e32 v49, v46, v112
	v_mul_f32_e32 v37, v30, v112
	v_fmac_f32_e32 v22, v38, v95
	v_mul_f32_e32 v52, v41, v114
	v_mul_f32_e32 v38, v25, v114
	v_fma_f32 v54, v54, v95, -v39
	v_mul_f32_e32 v53, v44, v116
	v_mul_f32_e32 v39, v28, v116
	v_fmac_f32_e32 v18, v35, v97
	v_mul_f32_e32 v55, v60, v118
	v_mul_f32_e32 v35, v58, v118
	v_fmac_f32_e32 v80, v26, v99
	v_fmac_f32_e32 v81, v31, v101
	v_fma_f32 v51, v51, v97, -v87
	v_fma_f32 v87, v42, v99, -v88
	;; [unrolled: 1-line block ×3, first 2 shown]
	v_fmac_f32_e32 v68, v29, v103
	v_fma_f32 v29, v45, v103, -v40
	v_fmac_f32_e32 v70, v32, v109
	v_fma_f32 v45, v48, v109, -v36
	;; [unrolled: 2-line block ×3, first 2 shown]
	v_mul_f32_e32 v33, v11, v122
	v_mul_f32_e32 v36, v9, v126
	;; [unrolled: 1-line block ×3, first 2 shown]
	v_fmac_f32_e32 v67, v34, v105
	v_fma_f32 v31, v50, v105, -v90
	v_fmac_f32_e32 v49, v30, v111
	v_fma_f32 v26, v46, v111, -v37
	;; [unrolled: 2-line block ×5, first 2 shown]
	v_mul_f32_e32 v34, v16, v120
	v_mul_f32_e32 v30, v14, v120
	;; [unrolled: 1-line block ×9, first 2 shown]
	v_add_f32_e32 v48, v73, v81
	v_add_f32_e32 v58, v72, v80
	v_sub_f32_e32 v92, v79, v76
	v_sub_f32_e32 v50, v77, v47
	;; [unrolled: 1-line block ×3, first 2 shown]
	v_fmac_f32_e32 v33, v7, v121
	v_fmac_f32_e32 v36, v5, v125
	v_fma_f32 v5, v9, v125, -v43
	v_add_f32_e32 v7, v66, v70
	v_add_f32_e32 v9, v65, v56
	;; [unrolled: 1-line block ×3, first 2 shown]
	v_fmac_f32_e32 v34, v14, v119
	v_fma_f32 v40, v16, v119, -v30
	v_fma_f32 v41, v11, v121, -v39
	v_fmac_f32_e32 v35, v8, v123
	v_fma_f32 v39, v12, v123, -v42
	v_fmac_f32_e32 v37, v6, v127
	;; [unrolled: 2-line block ×3, first 2 shown]
	v_fma_f32 v42, v59, v129, -v46
	v_sub_f32_e32 v8, v71, v45
	v_sub_f32_e32 v10, v69, v32
	v_add_f32_e32 v11, v68, v67
	v_sub_f32_e32 v12, v31, v29
	v_add_f32_e32 v14, v22, v55
	v_sub_f32_e32 v16, v54, v28
	v_add_f32_e32 v30, v18, v53
	v_sub_f32_e32 v43, v51, v27
	v_sub_f32_e32 v46, v25, v26
	v_add_f32_e32 v57, v58, v48
	v_add_f32_e32 v88, v92, v60
	v_sub_f32_e32 v89, v92, v60
	v_sub_f32_e32 v90, v50, v92
	v_add_f32_e32 v92, v9, v7
	v_add_f32_e32 v44, v49, v52
	v_sub_f32_e32 v59, v58, v48
	v_sub_f32_e32 v48, v48, v91
	;; [unrolled: 1-line block ×7, first 2 shown]
	v_add_f32_e32 v94, v12, v10
	v_sub_f32_e32 v95, v12, v10
	v_sub_f32_e32 v10, v10, v8
	v_add_f32_e32 v96, v30, v14
	v_add_f32_e32 v98, v46, v43
	v_sub_f32_e32 v99, v46, v43
	v_sub_f32_e32 v43, v43, v16
	v_add_f32_e32 v57, v91, v57
	v_add_f32_e32 v11, v11, v92
	v_sub_f32_e32 v12, v8, v12
	v_sub_f32_e32 v97, v30, v14
	;; [unrolled: 1-line block ×5, first 2 shown]
	v_add_f32_e32 v50, v88, v50
	v_mul_f32_e32 v48, 0x3f4a47b2, v48
	v_mul_f32_e32 v88, 0x3d64c772, v58
	;; [unrolled: 1-line block ×4, first 2 shown]
	v_add_f32_e32 v8, v94, v8
	v_mul_f32_e32 v7, 0x3f4a47b2, v7
	v_mul_f32_e32 v92, 0x3d64c772, v9
	;; [unrolled: 1-line block ×4, first 2 shown]
	v_add_f32_e32 v44, v44, v96
	v_add_f32_e32 v16, v98, v16
	v_mul_f32_e32 v98, 0x3f08b237, v99
	v_mul_f32_e32 v99, 0xbf5ff5aa, v43
	v_add_f32_e32 v19, v19, v57
	v_add_f32_e32 v20, v20, v11
	v_mul_f32_e32 v14, 0x3f4a47b2, v14
	v_mul_f32_e32 v96, 0x3d64c772, v30
	v_fmamk_f32 v58, v58, 0x3d64c772, v48
	v_fma_f32 v88, 0x3f3bfb3b, v59, -v88
	v_fma_f32 v48, 0xbf3bfb3b, v59, -v48
	v_fmamk_f32 v59, v90, 0xbeae86e6, v89
	v_fma_f32 v60, 0xbf5ff5aa, v60, -v89
	v_fma_f32 v89, 0x3eae86e6, v90, -v91
	;; [unrolled: 3-line block ×4, first 2 shown]
	v_add_f32_e32 v17, v17, v44
	v_fmamk_f32 v93, v46, 0xbeae86e6, v98
	v_fma_f32 v43, 0xbf5ff5aa, v43, -v98
	v_fma_f32 v46, 0x3eae86e6, v46, -v99
	v_fmamk_f32 v57, v57, 0xbf955555, v19
	v_fmamk_f32 v11, v11, 0xbf955555, v20
	;; [unrolled: 1-line block ×3, first 2 shown]
	v_fma_f32 v92, 0x3f3bfb3b, v97, -v96
	v_fma_f32 v14, 0xbf3bfb3b, v97, -v14
	v_fmac_f32_e32 v59, 0xbee1c552, v50
	v_fmac_f32_e32 v91, 0xbee1c552, v8
	;; [unrolled: 1-line block ×4, first 2 shown]
	v_fmamk_f32 v8, v44, 0xbf955555, v17
	v_fmac_f32_e32 v93, 0xbee1c552, v16
	v_fmac_f32_e32 v43, 0xbee1c552, v16
	;; [unrolled: 1-line block ×3, first 2 shown]
	v_add_f32_e32 v16, v58, v57
	v_fmac_f32_e32 v60, 0xbee1c552, v50
	v_fmac_f32_e32 v89, 0xbee1c552, v50
	v_add_f32_e32 v44, v88, v57
	v_add_f32_e32 v48, v48, v57
	;; [unrolled: 1-line block ×10, first 2 shown]
	v_sub_f32_e32 v58, v44, v60
	v_add_f32_e32 v44, v60, v44
	v_sub_f32_e32 v48, v48, v89
	v_sub_f32_e32 v16, v16, v59
	v_add_f32_e32 v59, v91, v9
	v_add_f32_e32 v60, v12, v7
	v_sub_f32_e32 v88, v50, v10
	v_add_f32_e32 v10, v10, v50
	v_sub_f32_e32 v7, v7, v12
	v_sub_f32_e32 v9, v9, v91
	v_add_f32_e32 v12, v93, v11
	v_add_f32_e32 v50, v46, v8
	v_sub_f32_e32 v89, v30, v43
	v_add_f32_e32 v30, v43, v30
	v_sub_f32_e32 v8, v8, v46
	v_sub_f32_e32 v11, v11, v93
	ds_write2_b32 v64, v19, v14 offset1:40
	ds_write2_b32 v64, v57, v58 offset0:80 offset1:120
	ds_write2_b32 v64, v44, v48 offset0:160 offset1:200
	ds_write_b32 v64, v16 offset:960
	ds_write2_b32 v63, v20, v59 offset1:40
	ds_write2_b32 v63, v60, v88 offset0:80 offset1:120
	ds_write2_b32 v63, v10, v7 offset0:160 offset1:200
	ds_write_b32 v63, v9 offset:960
	;; [unrolled: 4-line block ×3, first 2 shown]
	s_and_saveexec_b32 s1, s0
	s_cbranch_execz .LBB0_41
; %bb.40:
	v_add_f32_e32 v7, v34, v38
	v_add_f32_e32 v9, v33, v37
	;; [unrolled: 1-line block ×3, first 2 shown]
	v_sub_f32_e32 v10, v5, v39
	v_sub_f32_e32 v14, v41, v6
	;; [unrolled: 1-line block ×3, first 2 shown]
	v_add_f32_e32 v12, v9, v7
	v_sub_f32_e32 v11, v7, v8
	v_sub_f32_e32 v17, v8, v9
	;; [unrolled: 1-line block ×4, first 2 shown]
	v_add_f32_e32 v8, v8, v12
	v_sub_f32_e32 v12, v10, v14
	v_mul_f32_e32 v11, 0x3f4a47b2, v11
	v_mul_f32_e32 v20, 0x3d64c772, v17
	v_sub_f32_e32 v30, v16, v10
	v_add_f32_e32 v13, v13, v8
	v_add_f32_e32 v10, v10, v14
	v_mul_f32_e32 v12, 0x3f08b237, v12
	v_mul_f32_e32 v9, 0xbf5ff5aa, v19
	v_fmamk_f32 v17, v17, 0x3d64c772, v11
	v_fmamk_f32 v8, v8, 0xbf955555, v13
	v_add_f32_e32 v10, v10, v16
	v_fma_f32 v11, 0xbf3bfb3b, v7, -v11
	v_fma_f32 v14, 0xbf5ff5aa, v19, -v12
	;; [unrolled: 1-line block ×3, first 2 shown]
	v_fmamk_f32 v12, v30, 0xbeae86e6, v12
	v_fma_f32 v9, 0x3eae86e6, v30, -v9
	v_add_f32_e32 v11, v11, v8
	v_fmac_f32_e32 v14, 0xbee1c552, v10
	v_add_f32_e32 v7, v7, v8
	v_add_f32_e32 v8, v17, v8
	v_fmac_f32_e32 v12, 0xbee1c552, v10
	v_fmac_f32_e32 v9, 0xbee1c552, v10
	v_add_nc_u32_e32 v17, 0x1000, v61
	v_add_f32_e32 v16, v14, v7
	v_sub_f32_e32 v7, v7, v14
	v_add_f32_e32 v14, v12, v8
	v_sub_f32_e32 v10, v11, v9
	v_add_f32_e32 v9, v9, v11
	v_add_nc_u32_e32 v11, 0x1400, v61
	v_sub_f32_e32 v8, v8, v12
	ds_write2_b32 v17, v13, v14 offset0:96 offset1:136
	ds_write2_b32 v17, v9, v7 offset0:176 offset1:216
	ds_write2_b32 v11, v16, v10 offset1:40
	ds_write_b32 v61, v8 offset:5440
.LBB0_41:
	s_or_b32 exec_lo, exec_lo, s1
	v_add_f32_e32 v7, v77, v47
	v_add_f32_e32 v8, v78, v87
	v_sub_f32_e32 v9, v73, v81
	v_add_f32_e32 v10, v76, v79
	v_sub_f32_e32 v11, v72, v80
	v_sub_f32_e32 v12, v75, v74
	v_add_f32_e32 v13, v8, v7
	v_sub_f32_e32 v14, v8, v7
	v_sub_f32_e32 v7, v7, v10
	;; [unrolled: 1-line block ×3, first 2 shown]
	v_add_f32_e32 v16, v12, v11
	v_add_f32_e32 v10, v10, v13
	v_sub_f32_e32 v13, v12, v11
	v_sub_f32_e32 v11, v11, v9
	;; [unrolled: 1-line block ×3, first 2 shown]
	v_add_f32_e32 v9, v16, v9
	v_add_f32_e32 v43, v23, v10
	v_mul_f32_e32 v7, 0x3f4a47b2, v7
	v_mul_f32_e32 v16, 0x3d64c772, v8
	;; [unrolled: 1-line block ×4, first 2 shown]
	v_fmamk_f32 v10, v10, 0xbf955555, v43
	v_fmamk_f32 v8, v8, 0x3d64c772, v7
	v_fma_f32 v16, 0x3f3bfb3b, v14, -v16
	v_fma_f32 v7, 0xbf3bfb3b, v14, -v7
	v_fmamk_f32 v14, v12, 0xbeae86e6, v13
	v_fma_f32 v11, 0xbf5ff5aa, v11, -v13
	v_fma_f32 v12, 0x3eae86e6, v12, -v17
	v_add_f32_e32 v8, v8, v10
	v_add_f32_e32 v13, v16, v10
	;; [unrolled: 1-line block ×3, first 2 shown]
	v_fmac_f32_e32 v14, 0xbee1c552, v9
	v_fmac_f32_e32 v12, 0xbee1c552, v9
	;; [unrolled: 1-line block ×3, first 2 shown]
	v_add_f32_e32 v9, v71, v45
	v_add_f32_e32 v10, v69, v32
	v_sub_f32_e32 v16, v65, v56
	v_sub_f32_e32 v17, v67, v68
	v_add_f32_e32 v47, v11, v13
	v_sub_f32_e32 v48, v13, v11
	v_sub_f32_e32 v11, v66, v70
	v_add_f32_e32 v13, v29, v31
	v_add_f32_e32 v19, v10, v9
	v_sub_f32_e32 v20, v10, v9
	v_add_f32_e32 v23, v17, v16
	v_sub_f32_e32 v44, v8, v14
	v_sub_f32_e32 v9, v9, v13
	;; [unrolled: 1-line block ×3, first 2 shown]
	v_add_f32_e32 v13, v13, v19
	v_sub_f32_e32 v19, v17, v16
	v_sub_f32_e32 v16, v16, v11
	;; [unrolled: 1-line block ×3, first 2 shown]
	v_add_f32_e32 v11, v23, v11
	v_add_f32_e32 v45, v24, v13
	v_mul_f32_e32 v9, 0x3f4a47b2, v9
	v_mul_f32_e32 v23, 0x3d64c772, v10
	;; [unrolled: 1-line block ×4, first 2 shown]
	v_fmamk_f32 v13, v13, 0xbf955555, v45
	v_fmamk_f32 v10, v10, 0x3d64c772, v9
	v_fma_f32 v23, 0x3f3bfb3b, v20, -v23
	v_fma_f32 v9, 0xbf3bfb3b, v20, -v9
	v_fmamk_f32 v20, v17, 0xbeae86e6, v19
	v_fma_f32 v17, 0x3eae86e6, v17, -v24
	v_sub_f32_e32 v46, v7, v12
	v_fma_f32 v16, 0xbf5ff5aa, v16, -v19
	v_add_f32_e32 v9, v9, v13
	v_add_f32_e32 v50, v12, v7
	v_fmac_f32_e32 v17, 0xbee1c552, v11
	v_add_f32_e32 v56, v14, v8
	v_add_f32_e32 v7, v54, v28
	v_add_f32_e32 v8, v51, v27
	v_add_f32_e32 v10, v10, v13
	v_add_f32_e32 v19, v23, v13
	v_fmac_f32_e32 v20, 0xbee1c552, v11
	v_fmac_f32_e32 v16, 0xbee1c552, v11
	v_sub_f32_e32 v58, v9, v17
	v_add_f32_e32 v65, v17, v9
	v_sub_f32_e32 v9, v22, v55
	v_add_f32_e32 v11, v26, v25
	v_sub_f32_e32 v12, v18, v53
	v_sub_f32_e32 v13, v52, v49
	v_add_f32_e32 v14, v8, v7
	v_add_f32_e32 v59, v16, v19
	v_sub_f32_e32 v60, v19, v16
	v_sub_f32_e32 v16, v8, v7
	;; [unrolled: 1-line block ×4, first 2 shown]
	v_add_f32_e32 v17, v13, v12
	v_add_f32_e32 v11, v11, v14
	v_sub_f32_e32 v14, v13, v12
	v_sub_f32_e32 v12, v12, v9
	;; [unrolled: 1-line block ×3, first 2 shown]
	v_add_f32_e32 v9, v17, v9
	v_add_f32_e32 v49, v21, v11
	v_mul_f32_e32 v14, 0x3f08b237, v14
	v_mul_f32_e32 v18, 0xbf5ff5aa, v12
	;; [unrolled: 1-line block ×4, first 2 shown]
	v_fmamk_f32 v11, v11, 0xbf955555, v49
	v_fmamk_f32 v51, v13, 0xbeae86e6, v14
	v_fma_f32 v52, 0x3eae86e6, v13, -v18
	v_fma_f32 v53, 0xbf5ff5aa, v12, -v14
	v_fmamk_f32 v8, v8, 0x3d64c772, v7
	v_fma_f32 v17, 0x3f3bfb3b, v16, -v17
	v_fma_f32 v7, 0xbf3bfb3b, v16, -v7
	v_fmac_f32_e32 v51, 0xbee1c552, v9
	v_fmac_f32_e32 v52, 0xbee1c552, v9
	;; [unrolled: 1-line block ×3, first 2 shown]
	v_add_nc_u32_e32 v9, 0x200, v0
	v_add_nc_u32_e32 v18, 0xc00, v0
	;; [unrolled: 1-line block ×7, first 2 shown]
	v_sub_f32_e32 v57, v10, v20
	v_add_f32_e32 v54, v8, v11
	v_add_f32_e32 v55, v7, v11
	;; [unrolled: 1-line block ×4, first 2 shown]
	s_waitcnt lgkmcnt(0)
	s_barrier
	buffer_gl0_inv
	ds_read2_b32 v[7:8], v0 offset1:56
	ds_read2_b32 v[13:14], v9 offset0:96 offset1:152
	ds_read2_b32 v[11:12], v24 offset0:48 offset1:104
	ds_read2_b32 v[9:10], v18 offset0:16 offset1:72
	ds_read2_b32 v[16:17], v16 offset0:96 offset1:152
	ds_read2_b32 v[20:21], v25 offset0:80 offset1:136
	ds_read2_b32 v[22:23], v18 offset0:128 offset1:184
	ds_read2_b32 v[18:19], v0 offset0:112 offset1:168
	ds_read2_b32 v[26:27], v24 offset0:160 offset1:216
	ds_read2_b32 v[28:29], v28 offset0:80 offset1:136
	ds_read2_b32 v[24:25], v25 offset0:192 offset1:248
	ds_read2_b32 v[30:31], v30 offset0:112 offset1:168
	ds_read_b32 v32, v0 offset:5376
	v_sub_f32_e32 v68, v54, v51
	v_sub_f32_e32 v69, v55, v52
	v_add_f32_e32 v70, v53, v67
	v_sub_f32_e32 v53, v67, v53
	v_add_f32_e32 v52, v52, v55
	v_add_f32_e32 v51, v51, v54
	s_waitcnt lgkmcnt(0)
	s_barrier
	buffer_gl0_inv
	ds_write2_b32 v64, v43, v44 offset1:40
	ds_write2_b32 v64, v46, v47 offset0:80 offset1:120
	ds_write2_b32 v64, v48, v50 offset0:160 offset1:200
	ds_write_b32 v64, v56 offset:960
	ds_write2_b32 v63, v45, v57 offset1:40
	ds_write2_b32 v63, v58, v59 offset0:80 offset1:120
	ds_write2_b32 v63, v60, v65 offset0:160 offset1:200
	ds_write_b32 v63, v66 offset:960
	;; [unrolled: 4-line block ×3, first 2 shown]
	s_and_saveexec_b32 s1, s0
	s_cbranch_execz .LBB0_43
; %bb.42:
	v_add_f32_e32 v40, v40, v42
	v_add_f32_e32 v6, v41, v6
	;; [unrolled: 1-line block ×3, first 2 shown]
	v_sub_f32_e32 v33, v33, v37
	v_sub_f32_e32 v35, v36, v35
	v_sub_f32_e32 v34, v34, v38
	v_add_f32_e32 v36, v6, v40
	v_sub_f32_e32 v37, v6, v40
	v_sub_f32_e32 v38, v40, v5
	;; [unrolled: 1-line block ×3, first 2 shown]
	v_add_f32_e32 v39, v35, v33
	v_add_f32_e32 v5, v5, v36
	v_sub_f32_e32 v36, v35, v33
	v_sub_f32_e32 v33, v33, v34
	;; [unrolled: 1-line block ×3, first 2 shown]
	v_add_f32_e32 v34, v39, v34
	v_add_f32_e32 v15, v15, v5
	v_mul_f32_e32 v38, 0x3f4a47b2, v38
	v_mul_f32_e32 v39, 0x3d64c772, v6
	;; [unrolled: 1-line block ×4, first 2 shown]
	v_fmamk_f32 v5, v5, 0xbf955555, v15
	v_fmamk_f32 v6, v6, 0x3d64c772, v38
	v_fma_f32 v39, 0x3f3bfb3b, v37, -v39
	v_fma_f32 v37, 0xbf3bfb3b, v37, -v38
	v_fmamk_f32 v38, v35, 0xbeae86e6, v36
	v_fma_f32 v33, 0xbf5ff5aa, v33, -v36
	v_fma_f32 v35, 0x3eae86e6, v35, -v40
	v_add_f32_e32 v6, v6, v5
	v_add_f32_e32 v36, v39, v5
	v_fmac_f32_e32 v38, 0xbee1c552, v34
	v_fmac_f32_e32 v33, 0xbee1c552, v34
	v_add_f32_e32 v5, v37, v5
	v_fmac_f32_e32 v35, 0xbee1c552, v34
	v_sub_f32_e32 v34, v6, v38
	v_add_f32_e32 v39, v33, v36
	v_sub_f32_e32 v33, v36, v33
	v_add_nc_u32_e32 v36, 0x1000, v61
	v_sub_f32_e32 v37, v5, v35
	v_add_f32_e32 v5, v35, v5
	v_add_nc_u32_e32 v35, 0x1400, v61
	v_add_f32_e32 v6, v38, v6
	ds_write2_b32 v36, v15, v34 offset0:96 offset1:136
	ds_write2_b32 v36, v37, v39 offset0:176 offset1:216
	ds_write2_b32 v35, v33, v5 offset1:40
	ds_write_b32 v61, v6 offset:5440
.LBB0_43:
	s_or_b32 exec_lo, exec_lo, s1
	s_waitcnt lgkmcnt(0)
	s_barrier
	buffer_gl0_inv
	s_and_saveexec_b32 s0, vcc_lo
	s_cbranch_execz .LBB0_45
; %bb.44:
	v_lshlrev_b32_e32 v5, 2, v86
	v_mov_b32_e32 v6, 0
	v_add_nc_u32_e32 v81, 0x400, v0
	v_add_nc_u32_e32 v93, 0xc00, v0
	;; [unrolled: 1-line block ×3, first 2 shown]
	v_mad_u64_u32 v[73:74], null, s2, v3, 0
	v_lshlrev_b64 v[33:34], 3, v[5:6]
	v_lshlrev_b32_e32 v5, 2, v85
	v_add_nc_u32_e32 v85, 0x200, v0
	v_add_nc_u32_e32 v95, 0x800, v0
	;; [unrolled: 1-line block ×4, first 2 shown]
	v_add_co_u32 v15, vcc_lo, s12, v33
	v_add_co_ci_u32_e32 v35, vcc_lo, s13, v34, vcc_lo
	v_lshlrev_b64 v[41:42], 3, v[5:6]
	v_add_co_u32 v33, vcc_lo, 0x800, v15
	v_add_co_ci_u32_e32 v34, vcc_lo, 0, v35, vcc_lo
	v_add_co_u32 v37, vcc_lo, 0x8b0, v15
	v_add_co_ci_u32_e32 v38, vcc_lo, 0, v35, vcc_lo
	;; [unrolled: 2-line block ×3, first 2 shown]
	s_clause 0x1
	global_load_dwordx4 v[33:36], v[33:34], off offset:176
	global_load_dwordx4 v[37:40], v[37:38], off offset:16
	v_add_co_u32 v41, vcc_lo, 0x800, v5
	v_add_co_ci_u32_e32 v42, vcc_lo, 0, v15, vcc_lo
	v_add_co_u32 v45, vcc_lo, 0x8b0, v5
	v_lshlrev_b32_e32 v5, 2, v84
	v_add_co_ci_u32_e32 v46, vcc_lo, 0, v15, vcc_lo
	s_clause 0x1
	global_load_dwordx4 v[41:44], v[41:42], off offset:176
	global_load_dwordx4 v[45:48], v[45:46], off offset:16
	v_lshlrev_b64 v[49:50], 3, v[5:6]
	v_add_co_u32 v5, vcc_lo, s12, v49
	v_add_co_ci_u32_e32 v15, vcc_lo, s13, v50, vcc_lo
	v_add_co_u32 v49, vcc_lo, 0x800, v5
	v_add_co_ci_u32_e32 v50, vcc_lo, 0, v15, vcc_lo
	v_add_co_u32 v53, vcc_lo, 0x8b0, v5
	v_lshlrev_b32_e32 v5, 2, v83
	v_add_co_ci_u32_e32 v54, vcc_lo, 0, v15, vcc_lo
	s_clause 0x1
	global_load_dwordx4 v[49:52], v[49:50], off offset:176
	global_load_dwordx4 v[53:56], v[53:54], off offset:16
	v_lshlrev_b64 v[57:58], 3, v[5:6]
	v_add_co_u32 v5, vcc_lo, s12, v57
	v_add_co_ci_u32_e32 v15, vcc_lo, s13, v58, vcc_lo
	v_add_co_u32 v57, vcc_lo, 0x800, v5
	v_add_co_ci_u32_e32 v58, vcc_lo, 0, v15, vcc_lo
	;; [unrolled: 2-line block ×3, first 2 shown]
	s_clause 0x1
	global_load_dwordx4 v[57:60], v[57:58], off offset:176
	global_load_dwordx4 v[61:64], v[61:62], off offset:16
	v_lshlrev_b32_e32 v5, 2, v82
	v_lshlrev_b64 v[65:66], 3, v[5:6]
	v_add_co_u32 v5, vcc_lo, s12, v65
	v_add_co_ci_u32_e32 v15, vcc_lo, s13, v66, vcc_lo
	v_add_co_u32 v65, vcc_lo, 0x800, v5
	v_add_co_ci_u32_e32 v66, vcc_lo, 0, v15, vcc_lo
	;; [unrolled: 2-line block ×3, first 2 shown]
	s_clause 0x1
	global_load_dwordx4 v[65:68], v[65:66], off offset:176
	global_load_dwordx4 v[69:72], v[69:70], off offset:16
	v_mul_lo_u32 v5, s3, v3
	v_mul_lo_u32 v15, s2, v4
	ds_read_b32 v99, v0 offset:5376
	ds_read2_b32 v[3:4], v81 offset0:192 offset1:248
	ds_read2_b32 v[75:76], v93 offset0:16 offset1:72
	;; [unrolled: 1-line block ×4, first 2 shown]
	ds_read2_b32 v[83:84], v0 offset1:56
	ds_read2_b32 v[85:86], v85 offset0:96 offset1:152
	ds_read2_b32 v[87:88], v95 offset0:160 offset1:216
	;; [unrolled: 1-line block ×7, first 2 shown]
	v_add3_u32 v74, v74, v15, v5
	s_waitcnt vmcnt(9)
	v_mul_f32_e32 v0, v25, v34
	v_mul_f32_e32 v5, v9, v36
	s_waitcnt vmcnt(8)
	v_mul_f32_e32 v15, v32, v40
	v_mul_f32_e32 v81, v31, v38
	s_waitcnt lgkmcnt(11)
	v_mul_f32_e32 v34, v4, v34
	v_mul_f32_e32 v40, v99, v40
	s_waitcnt lgkmcnt(10)
	v_mul_f32_e32 v36, v75, v36
	s_waitcnt lgkmcnt(9)
	v_mul_f32_e32 v38, v78, v38
	v_fma_f32 v0, v33, v4, -v0
	v_fma_f32 v5, v35, v75, -v5
	;; [unrolled: 1-line block ×4, first 2 shown]
	v_fmac_f32_e32 v34, v25, v33
	v_fmac_f32_e32 v40, v32, v39
	;; [unrolled: 1-line block ×4, first 2 shown]
	s_waitcnt vmcnt(7)
	v_mul_f32_e32 v4, v27, v44
	v_mul_f32_e32 v9, v24, v42
	s_waitcnt vmcnt(6)
	v_mul_f32_e32 v25, v30, v46
	v_mul_f32_e32 v31, v29, v48
	s_waitcnt lgkmcnt(5)
	v_mul_f32_e32 v35, v88, v44
	v_mul_f32_e32 v37, v77, v46
	;; [unrolled: 1-line block ×3, first 2 shown]
	s_waitcnt lgkmcnt(4)
	v_mul_f32_e32 v42, v90, v48
	v_sub_f32_e32 v33, v0, v5
	v_sub_f32_e32 v39, v15, v75
	v_add_f32_e32 v44, v5, v75
	v_sub_f32_e32 v46, v34, v40
	v_sub_f32_e32 v78, v34, v36
	v_sub_f32_e32 v81, v40, v38
	v_add_f32_e32 v99, v36, v38
	v_sub_f32_e32 v100, v0, v15
	;; [unrolled: 4-line block ×3, first 2 shown]
	v_add_f32_e32 v107, v34, v40
	v_add_f32_e32 v0, v0, v85
	;; [unrolled: 1-line block ×3, first 2 shown]
	v_fma_f32 v88, v43, v88, -v4
	v_fma_f32 v9, v41, v3, -v9
	;; [unrolled: 1-line block ×4, first 2 shown]
	v_fmac_f32_e32 v35, v27, v43
	v_fmac_f32_e32 v37, v30, v45
	;; [unrolled: 1-line block ×4, first 2 shown]
	s_waitcnt vmcnt(5)
	v_mul_f32_e32 v29, v26, v52
	s_waitcnt lgkmcnt(3)
	v_mul_f32_e32 v41, v92, v50
	s_waitcnt vmcnt(4)
	v_mul_f32_e32 v47, v89, v56
	v_mul_f32_e32 v43, v87, v52
	s_waitcnt lgkmcnt(2)
	v_mul_f32_e32 v45, v94, v54
	v_sub_f32_e32 v101, v5, v75
	v_sub_f32_e32 v106, v38, v40
	v_mul_f32_e32 v27, v21, v50
	v_mul_f32_e32 v30, v28, v56
	;; [unrolled: 1-line block ×3, first 2 shown]
	v_add_f32_e32 v50, v33, v39
	v_fma_f32 v4, -0.5, v44, v85
	v_add_f32_e32 v44, v78, v81
	v_fma_f32 v3, -0.5, v99, v13
	;; [unrolled: 2-line block ×3, first 2 shown]
	v_fma_f32 v24, -0.5, v107, v13
	v_add_f32_e32 v0, v5, v0
	v_add_f32_e32 v5, v34, v36
	v_sub_f32_e32 v13, v88, v9
	v_sub_f32_e32 v33, v77, v90
	v_add_f32_e32 v34, v9, v90
	v_sub_f32_e32 v81, v9, v90
	v_sub_f32_e32 v102, v9, v88
	v_add_f32_e32 v104, v88, v77
	v_add_f32_e32 v9, v9, v80
	;; [unrolled: 1-line block ×3, first 2 shown]
	v_fma_f32 v87, v51, v87, -v29
	v_fmac_f32_e32 v41, v21, v49
	v_fmac_f32_e32 v47, v28, v55
	;; [unrolled: 1-line block ×4, first 2 shown]
	s_waitcnt vmcnt(3)
	v_mul_f32_e32 v23, v12, v60
	s_waitcnt vmcnt(2)
	v_mul_f32_e32 v51, v22, v62
	v_add_f32_e32 v54, v105, v106
	v_sub_f32_e32 v39, v35, v32
	v_sub_f32_e32 v78, v37, v42
	v_add_f32_e32 v85, v32, v42
	v_sub_f32_e32 v99, v88, v77
	v_sub_f32_e32 v103, v90, v77
	;; [unrolled: 1-line block ×4, first 2 shown]
	v_add_f32_e32 v107, v35, v37
	v_fma_f32 v92, v49, v92, -v27
	v_fma_f32 v89, v55, v89, -v30
	;; [unrolled: 1-line block ×3, first 2 shown]
	v_mul_f32_e32 v21, v20, v58
	v_mul_f32_e32 v49, v17, v64
	;; [unrolled: 1-line block ×3, first 2 shown]
	s_waitcnt lgkmcnt(0)
	v_mul_f32_e32 v55, v98, v64
	v_mul_f32_e32 v58, v96, v60
	;; [unrolled: 1-line block ×3, first 2 shown]
	v_add_f32_e32 v5, v5, v38
	v_add_f32_e32 v62, v13, v33
	v_fma_f32 v31, -0.5, v34, v80
	v_fma_f32 v33, -0.5, v104, v80
	v_add_f32_e32 v9, v88, v9
	v_add_f32_e32 v34, v35, v108
	v_sub_f32_e32 v80, v41, v47
	v_sub_f32_e32 v88, v41, v43
	;; [unrolled: 1-line block ×3, first 2 shown]
	v_add_f32_e32 v111, v41, v47
	v_add_f32_e32 v41, v18, v41
	v_fma_f32 v23, v59, v96, -v23
	v_fma_f32 v51, v61, v93, -v51
	v_sub_f32_e32 v48, v36, v38
	v_sub_f32_e32 v36, v35, v37
	;; [unrolled: 1-line block ×3, first 2 shown]
	v_fmamk_f32 v26, v100, 0x3f737871, v3
	v_fmac_f32_e32 v3, 0xbf737871, v100
	v_add_f32_e32 v0, v75, v0
	v_add_f32_e32 v64, v39, v78
	v_fma_f32 v30, -0.5, v85, v19
	v_add_f32_e32 v75, v102, v103
	v_add_f32_e32 v78, v105, v106
	v_fma_f32 v32, -0.5, v107, v19
	v_sub_f32_e32 v35, v92, v87
	v_sub_f32_e32 v38, v89, v94
	v_add_f32_e32 v39, v87, v94
	v_sub_f32_e32 v85, v43, v45
	v_sub_f32_e32 v102, v47, v45
	v_add_f32_e32 v103, v43, v45
	v_sub_f32_e32 v104, v92, v89
	v_sub_f32_e32 v106, v87, v92
	;; [unrolled: 1-line block ×3, first 2 shown]
	v_add_f32_e32 v108, v92, v89
	v_fma_f32 v91, v57, v91, -v21
	v_add_f32_e32 v92, v92, v79
	v_fma_f32 v96, v63, v98, -v49
	v_fmac_f32_e32 v53, v20, v57
	v_fmac_f32_e32 v55, v17, v63
	;; [unrolled: 1-line block ×4, first 2 shown]
	v_add_f32_e32 v12, v40, v5
	v_add_f32_e32 v5, v34, v37
	;; [unrolled: 1-line block ×4, first 2 shown]
	v_fmamk_f32 v27, v46, 0xbf737871, v4
	v_fmamk_f32 v29, v48, 0x3f737871, v25
	;; [unrolled: 1-line block ×3, first 2 shown]
	v_fmac_f32_e32 v25, 0xbf737871, v48
	v_fmac_f32_e32 v24, 0x3f737871, v101
	;; [unrolled: 1-line block ×3, first 2 shown]
	v_sub_f32_e32 v105, v87, v94
	v_fmac_f32_e32 v26, 0x3f167918, v101
	v_fmac_f32_e32 v3, 0xbf167918, v101
	v_add_f32_e32 v13, v15, v0
	v_add_f32_e32 v0, v77, v9
	;; [unrolled: 1-line block ×3, first 2 shown]
	v_fma_f32 v39, -0.5, v39, v79
	v_add_f32_e32 v57, v88, v102
	v_add_f32_e32 v59, v106, v107
	v_fma_f32 v35, -0.5, v108, v79
	v_fma_f32 v34, -0.5, v111, v18
	v_add_f32_e32 v9, v87, v92
	v_sub_f32_e32 v63, v53, v55
	v_add_f32_e32 v88, v58, v60
	v_add_f32_e32 v101, v91, v96
	;; [unrolled: 1-line block ×5, first 2 shown]
	v_fma_f32 v43, -0.5, v49, v84
	v_sub_f32_e32 v110, v45, v47
	v_fmac_f32_e32 v27, 0xbf167918, v48
	v_fmac_f32_e32 v29, 0xbf167918, v46
	;; [unrolled: 1-line block ×4, first 2 shown]
	v_fmamk_f32 v22, v56, 0x3f737871, v33
	v_fmac_f32_e32 v33, 0xbf737871, v56
	v_fma_f32 v38, -0.5, v103, v18
	v_sub_f32_e32 v46, v91, v23
	v_sub_f32_e32 v48, v96, v51
	;; [unrolled: 1-line block ×8, first 2 shown]
	v_add_f32_e32 v91, v91, v84
	v_add_f32_e32 v53, v8, v53
	v_fmac_f32_e32 v26, 0x3e9e377a, v44
	v_fmac_f32_e32 v3, 0x3e9e377a, v44
	v_add_f32_e32 v18, v90, v0
	v_fmamk_f32 v37, v80, 0xbf737871, v39
	v_fmamk_f32 v41, v85, 0xbf737871, v35
	;; [unrolled: 1-line block ×3, first 2 shown]
	v_fmac_f32_e32 v39, 0x3f737871, v80
	v_add_f32_e32 v0, v94, v9
	v_fmac_f32_e32 v35, 0x3f737871, v85
	v_fmac_f32_e32 v34, 0xbf737871, v105
	v_fma_f32 v42, -0.5, v88, v8
	v_fma_f32 v9, -0.5, v101, v84
	;; [unrolled: 1-line block ×3, first 2 shown]
	v_add_f32_e32 v44, v47, v5
	v_fmamk_f32 v47, v63, 0xbf737871, v43
	v_fmac_f32_e32 v43, 0x3f737871, v63
	v_fmac_f32_e32 v28, 0x3f167918, v100
	;; [unrolled: 1-line block ×3, first 2 shown]
	v_fmamk_f32 v20, v36, 0x3f737871, v31
	v_fmac_f32_e32 v31, 0xbf737871, v36
	v_add_f32_e32 v61, v109, v110
	v_sub_f32_e32 v100, v51, v96
	v_sub_f32_e32 v103, v60, v55
	v_fmac_f32_e32 v27, 0x3e9e377a, v50
	v_fmac_f32_e32 v4, 0x3e9e377a, v50
	;; [unrolled: 1-line block ×4, first 2 shown]
	v_fmamk_f32 v36, v104, 0x3f737871, v38
	v_fmac_f32_e32 v38, 0xbf737871, v104
	v_add_f32_e32 v50, v46, v48
	v_add_f32_e32 v23, v23, v91
	v_fmac_f32_e32 v37, 0xbf167918, v85
	v_fmac_f32_e32 v41, 0x3f167918, v80
	;; [unrolled: 1-line block ×6, first 2 shown]
	v_fmamk_f32 v49, v77, 0x3f737871, v9
	v_fmamk_f32 v48, v93, 0xbf737871, v8
	v_fmac_f32_e32 v9, 0xbf737871, v77
	v_fmac_f32_e32 v8, 0x3f737871, v93
	;; [unrolled: 1-line block ×4, first 2 shown]
	v_add_f32_e32 v5, v53, v58
	v_fmamk_f32 v19, v99, 0xbf737871, v30
	v_fmac_f32_e32 v30, 0x3f737871, v99
	v_sub_f32_e32 v87, v55, v60
	v_fmac_f32_e32 v28, 0x3e9e377a, v54
	v_fmac_f32_e32 v24, 0x3e9e377a, v54
	;; [unrolled: 1-line block ×4, first 2 shown]
	v_add_f32_e32 v54, v98, v100
	v_add_f32_e32 v56, v102, v103
	v_fmac_f32_e32 v36, 0x3f167918, v105
	v_fmac_f32_e32 v38, 0xbf167918, v105
	v_add_f32_e32 v45, v89, v0
	v_fmamk_f32 v46, v92, 0x3f737871, v42
	v_fmac_f32_e32 v42, 0xbf737871, v92
	v_fmac_f32_e32 v37, 0x3e9e377a, v15
	v_fmac_f32_e32 v41, 0x3e9e377a, v59
	v_fmac_f32_e32 v40, 0x3e9e377a, v61
	v_fmac_f32_e32 v39, 0x3e9e377a, v15
	v_fmac_f32_e32 v35, 0x3e9e377a, v59
	v_fmac_f32_e32 v34, 0x3e9e377a, v61
	v_fmac_f32_e32 v49, 0xbf167918, v63
	v_fmac_f32_e32 v48, 0x3f167918, v92
	v_fmac_f32_e32 v9, 0x3f167918, v63
	v_fmac_f32_e32 v8, 0xbf167918, v92
	v_fmac_f32_e32 v47, 0x3e9e377a, v50
	v_fmac_f32_e32 v43, 0x3e9e377a, v50
	v_add_f32_e32 v0, v51, v23
	s_waitcnt vmcnt(1)
	v_mul_f32_e32 v15, v14, v66
	v_mul_f32_e32 v23, v11, v68
	s_waitcnt vmcnt(0)
	v_mul_f32_e32 v50, v16, v72
	v_mul_f32_e32 v51, v10, v70
	v_add_f32_e32 v5, v5, v60
	v_mul_f32_e32 v58, v86, v66
	v_mul_f32_e32 v59, v97, v72
	;; [unrolled: 1-line block ×4, first 2 shown]
	v_fmac_f32_e32 v29, 0x3e9e377a, v52
	v_fmac_f32_e32 v25, 0x3e9e377a, v52
	;; [unrolled: 1-line block ×4, first 2 shown]
	v_add_f32_e32 v52, v79, v87
	v_fmac_f32_e32 v36, 0x3e9e377a, v57
	v_fmac_f32_e32 v38, 0x3e9e377a, v57
	;; [unrolled: 1-line block ×8, first 2 shown]
	v_fma_f32 v54, v65, v86, -v15
	v_fma_f32 v23, v67, v95, -v23
	;; [unrolled: 1-line block ×4, first 2 shown]
	v_fmac_f32_e32 v58, v14, v65
	v_fmac_f32_e32 v59, v16, v71
	;; [unrolled: 1-line block ×8, first 2 shown]
	v_add_f32_e32 v15, v23, v57
	v_sub_f32_e32 v52, v58, v60
	v_sub_f32_e32 v64, v59, v61
	;; [unrolled: 1-line block ×4, first 2 shown]
	v_fmac_f32_e32 v20, 0x3e9e377a, v62
	v_fmac_f32_e32 v31, 0x3e9e377a, v62
	v_sub_f32_e32 v10, v54, v23
	v_sub_f32_e32 v16, v56, v57
	v_fma_f32 v11, -0.5, v15, v83
	v_sub_f32_e32 v62, v58, v59
	v_add_f32_e32 v50, v60, v61
	v_add_f32_e32 v64, v52, v64
	;; [unrolled: 1-line block ×4, first 2 shown]
	v_sub_f32_e32 v66, v60, v58
	v_sub_f32_e32 v67, v61, v59
	v_lshrrev_b32_e32 v68, 3, v82
	v_add_f32_e32 v15, v96, v0
	v_add_f32_e32 v0, v10, v16
	v_fmamk_f32 v51, v62, 0xbf737871, v11
	v_fma_f32 v10, -0.5, v50, v7
	v_add_f32_e32 v16, v54, v56
	v_sub_f32_e32 v63, v60, v61
	v_fma_f32 v52, -0.5, v52, v7
	v_add_f32_e32 v66, v66, v67
	v_add_f32_e32 v67, v54, v83
	v_fmac_f32_e32 v11, 0x3f737871, v62
	v_add_f32_e32 v7, v7, v58
	v_mul_hi_u32 v58, 0xea0ea0f, v68
	v_fma_f32 v53, -0.5, v16, v83
	v_sub_f32_e32 v16, v23, v57
	v_fmac_f32_e32 v51, 0xbf167918, v63
	v_add_f32_e32 v23, v23, v67
	v_fmac_f32_e32 v11, 0x3f167918, v63
	v_add_f32_e32 v7, v7, v60
	v_add_f32_e32 v14, v55, v5
	v_fmac_f32_e32 v51, 0x3e9e377a, v0
	v_add_f32_e32 v23, v57, v23
	v_fmac_f32_e32 v11, 0x3e9e377a, v0
	v_lshrrev_b32_e32 v0, 1, v58
	v_add_f32_e32 v7, v7, v61
	v_sub_f32_e32 v5, v54, v56
	v_fmamk_f32 v54, v16, 0x3f737871, v52
	v_add_f32_e32 v57, v56, v23
	v_fmac_f32_e32 v52, 0xbf737871, v16
	v_mul_u32_u24_e32 v0, 0x118, v0
	v_add_f32_e32 v56, v59, v7
	v_lshlrev_b64 v[58:59], 3, v[73:74]
	v_fmamk_f32 v50, v5, 0x3f737871, v10
	v_fmac_f32_e32 v10, 0xbf737871, v5
	v_fmac_f32_e32 v54, 0xbf167918, v5
	;; [unrolled: 1-line block ×3, first 2 shown]
	v_sub_nc_u32_e32 v5, v82, v0
	v_lshlrev_b64 v[0:1], 3, v[1:2]
	v_add_co_u32 v2, vcc_lo, s10, v58
	v_fmac_f32_e32 v50, 0x3f167918, v16
	v_fmac_f32_e32 v10, 0xbf167918, v16
	v_add_co_ci_u32_e32 v7, vcc_lo, s11, v59, vcc_lo
	v_add_nc_u32_e32 v16, 56, v82
	v_add_co_u32 v2, vcc_lo, v2, v0
	v_lshlrev_b32_e32 v5, 3, v5
	v_add_co_ci_u32_e32 v23, vcc_lo, v7, v1, vcc_lo
	v_lshrrev_b32_e32 v7, 3, v16
	v_fmamk_f32 v55, v63, 0xbf737871, v53
	v_add_co_u32 v0, vcc_lo, v2, v5
	v_add_co_ci_u32_e32 v1, vcc_lo, 0, v23, vcc_lo
	v_mul_hi_u32 v5, 0xea0ea0f, v7
	v_add_co_u32 v58, vcc_lo, 0x800, v0
	v_fmac_f32_e32 v10, 0x3e9e377a, v64
	v_add_co_ci_u32_e32 v59, vcc_lo, 0, v1, vcc_lo
	v_fmac_f32_e32 v53, 0x3f737871, v63
	global_store_dwordx2 v[0:1], v[56:57], off
	global_store_dwordx2 v[58:59], v[10:11], off offset:192
	v_lshrrev_b32_e32 v5, 1, v5
	v_add_co_u32 v10, vcc_lo, 0x1000, v0
	v_fmac_f32_e32 v55, 0x3f167918, v62
	v_fmac_f32_e32 v53, 0xbf167918, v62
	v_mul_u32_u24_e32 v7, 0x118, v5
	v_add_co_ci_u32_e32 v11, vcc_lo, 0, v1, vcc_lo
	v_add_co_u32 v56, vcc_lo, 0x1800, v0
	v_sub_nc_u32_e32 v7, v16, v7
	v_add_co_ci_u32_e32 v57, vcc_lo, 0, v1, vcc_lo
	v_fmac_f32_e32 v55, 0x3e9e377a, v65
	v_fmac_f32_e32 v54, 0x3e9e377a, v66
	v_mad_u32_u24 v5, 0x578, v5, v7
	v_add_nc_u32_e32 v7, 0x70, v82
	v_add_co_u32 v0, vcc_lo, 0x2000, v0
	v_fmac_f32_e32 v53, 0x3e9e377a, v65
	v_fmac_f32_e32 v52, 0x3e9e377a, v66
	v_lshrrev_b32_e32 v16, 3, v7
	v_fmac_f32_e32 v50, 0x3e9e377a, v64
	v_add_co_ci_u32_e32 v1, vcc_lo, 0, v1, vcc_lo
	global_store_dwordx2 v[10:11], v[54:55], off offset:384
	global_store_dwordx2 v[56:57], v[52:53], off offset:576
	;; [unrolled: 1-line block ×3, first 2 shown]
	v_mul_hi_u32 v16, 0xea0ea0f, v16
	v_add_nc_u32_e32 v10, 0x118, v5
	v_mov_b32_e32 v11, v6
	v_lshlrev_b64 v[0:1], 3, v[5:6]
	v_add_nc_u32_e32 v50, 0x230, v5
	v_mov_b32_e32 v51, v6
	v_add_nc_u32_e32 v52, 0x348, v5
	v_lshlrev_b64 v[10:11], 3, v[10:11]
	v_lshrrev_b32_e32 v16, 1, v16
	v_mov_b32_e32 v53, v6
	v_add_co_u32 v0, vcc_lo, v2, v0
	v_lshlrev_b64 v[50:51], 3, v[50:51]
	v_add_co_ci_u32_e32 v1, vcc_lo, v23, v1, vcc_lo
	v_mul_u32_u24_e32 v54, 0x118, v16
	v_add_co_u32 v10, vcc_lo, v2, v10
	v_lshlrev_b64 v[52:53], 3, v[52:53]
	v_add_co_ci_u32_e32 v11, vcc_lo, v23, v11, vcc_lo
	v_add_co_u32 v50, vcc_lo, v2, v50
	v_add_nc_u32_e32 v5, 0x460, v5
	v_sub_nc_u32_e32 v7, v7, v54
	v_add_co_ci_u32_e32 v51, vcc_lo, v23, v51, vcc_lo
	v_add_co_u32 v52, vcc_lo, v2, v52
	v_add_co_ci_u32_e32 v53, vcc_lo, v23, v53, vcc_lo
	v_lshlrev_b64 v[54:55], 3, v[5:6]
	v_mad_u32_u24 v5, 0x578, v16, v7
	global_store_dwordx2 v[0:1], v[14:15], off
	global_store_dwordx2 v[10:11], v[42:43], off
	;; [unrolled: 1-line block ×4, first 2 shown]
	v_add_nc_u32_e32 v11, 0xa8, v82
	v_mov_b32_e32 v10, v6
	v_mov_b32_e32 v15, v6
	v_lshlrev_b64 v[0:1], 3, v[5:6]
	v_add_co_u32 v7, vcc_lo, v2, v54
	v_lshrrev_b32_e32 v16, 3, v11
	v_add_nc_u32_e32 v9, 0x118, v5
	v_add_co_ci_u32_e32 v8, vcc_lo, v23, v55, vcc_lo
	v_add_co_u32 v0, vcc_lo, v2, v0
	v_mul_hi_u32 v16, 0xea0ea0f, v16
	v_add_nc_u32_e32 v14, 0x230, v5
	v_add_co_ci_u32_e32 v1, vcc_lo, v23, v1, vcc_lo
	v_lshlrev_b64 v[9:10], 3, v[9:10]
	global_store_dwordx2 v[7:8], v[46:47], off
	global_store_dwordx2 v[0:1], v[44:45], off
	v_lshlrev_b64 v[0:1], 3, v[14:15]
	v_lshrrev_b32_e32 v14, 1, v16
	v_fmamk_f32 v21, v81, 0xbf737871, v32
	v_add_co_u32 v7, vcc_lo, v2, v9
	v_add_co_ci_u32_e32 v8, vcc_lo, v23, v10, vcc_lo
	v_add_co_u32 v0, vcc_lo, v2, v0
	v_add_nc_u32_e32 v9, 0x348, v5
	v_mov_b32_e32 v10, v6
	v_add_nc_u32_e32 v5, 0x460, v5
	v_mul_u32_u24_e32 v15, 0x118, v14
	v_add_co_ci_u32_e32 v1, vcc_lo, v23, v1, vcc_lo
	v_lshlrev_b64 v[9:10], 3, v[9:10]
	global_store_dwordx2 v[7:8], v[38:39], off
	global_store_dwordx2 v[0:1], v[40:41], off
	v_lshlrev_b64 v[0:1], 3, v[5:6]
	v_sub_nc_u32_e32 v5, v11, v15
	v_add_nc_u32_e32 v11, 0xe0, v82
	v_add_co_u32 v7, vcc_lo, v2, v9
	v_add_co_ci_u32_e32 v8, vcc_lo, v23, v10, vcc_lo
	v_mad_u32_u24 v5, 0x578, v14, v5
	v_add_co_u32 v0, vcc_lo, v2, v0
	v_mov_b32_e32 v10, v6
	v_add_co_ci_u32_e32 v1, vcc_lo, v23, v1, vcc_lo
	v_add_nc_u32_e32 v9, 0x118, v5
	global_store_dwordx2 v[7:8], v[34:35], off
	global_store_dwordx2 v[0:1], v[36:37], off
	v_lshlrev_b64 v[14:15], 3, v[5:6]
	v_fmac_f32_e32 v21, 0xbf167918, v99
	v_lshlrev_b64 v[0:1], 3, v[9:10]
	v_lshrrev_b32_e32 v9, 3, v11
	v_fmac_f32_e32 v22, 0x3e9e377a, v75
	v_fmac_f32_e32 v32, 0x3f737871, v81
	v_add_co_u32 v7, vcc_lo, v2, v14
	v_mul_hi_u32 v16, 0xea0ea0f, v9
	v_add_co_ci_u32_e32 v8, vcc_lo, v23, v15, vcc_lo
	v_add_co_u32 v0, vcc_lo, v2, v0
	v_add_nc_u32_e32 v9, 0x230, v5
	v_fmac_f32_e32 v21, 0x3e9e377a, v78
	v_add_co_ci_u32_e32 v1, vcc_lo, v23, v1, vcc_lo
	v_add_nc_u32_e32 v14, 0x348, v5
	v_mov_b32_e32 v15, v6
	v_lshrrev_b32_e32 v16, 1, v16
	global_store_dwordx2 v[7:8], v[17:18], off
	v_lshlrev_b64 v[7:8], 3, v[9:10]
	global_store_dwordx2 v[0:1], v[21:22], off
	v_lshlrev_b64 v[0:1], 3, v[14:15]
	v_add_nc_u32_e32 v5, 0x460, v5
	v_mul_u32_u24_e32 v14, 0x118, v16
	v_fmac_f32_e32 v32, 0x3f167918, v99
	v_add_co_u32 v7, vcc_lo, v2, v7
	v_lshlrev_b64 v[9:10], 3, v[5:6]
	v_sub_nc_u32_e32 v5, v11, v14
	v_add_co_ci_u32_e32 v8, vcc_lo, v23, v8, vcc_lo
	v_add_co_u32 v0, vcc_lo, v2, v0
	v_add_co_ci_u32_e32 v1, vcc_lo, v23, v1, vcc_lo
	v_mad_u32_u24 v5, 0x578, v16, v5
	v_add_co_u32 v9, vcc_lo, v2, v9
	v_fmac_f32_e32 v33, 0x3e9e377a, v75
	v_fmac_f32_e32 v32, 0x3e9e377a, v78
	v_add_co_ci_u32_e32 v10, vcc_lo, v23, v10, vcc_lo
	v_add_nc_u32_e32 v14, 0x118, v5
	global_store_dwordx2 v[7:8], v[30:31], off
	global_store_dwordx2 v[0:1], v[19:20], off
	v_lshlrev_b64 v[0:1], 3, v[5:6]
	global_store_dwordx2 v[9:10], v[32:33], off
	v_add_nc_u32_e32 v9, 0x230, v5
	v_mov_b32_e32 v10, v6
	v_lshlrev_b64 v[7:8], 3, v[14:15]
	v_add_nc_u32_e32 v14, 0x348, v5
	v_add_co_u32 v0, vcc_lo, v2, v0
	v_lshlrev_b64 v[9:10], 3, v[9:10]
	v_add_nc_u32_e32 v5, 0x460, v5
	v_add_co_ci_u32_e32 v1, vcc_lo, v23, v1, vcc_lo
	v_add_co_u32 v7, vcc_lo, v2, v7
	v_lshlrev_b64 v[14:15], 3, v[14:15]
	v_add_co_ci_u32_e32 v8, vcc_lo, v23, v8, vcc_lo
	v_add_co_u32 v9, vcc_lo, v2, v9
	v_lshlrev_b64 v[5:6], 3, v[5:6]
	v_add_co_ci_u32_e32 v10, vcc_lo, v23, v10, vcc_lo
	v_add_co_u32 v14, vcc_lo, v2, v14
	v_add_co_ci_u32_e32 v15, vcc_lo, v23, v15, vcc_lo
	v_add_co_u32 v5, vcc_lo, v2, v5
	v_add_co_ci_u32_e32 v6, vcc_lo, v23, v6, vcc_lo
	global_store_dwordx2 v[0:1], v[12:13], off
	global_store_dwordx2 v[7:8], v[3:4], off
	;; [unrolled: 1-line block ×5, first 2 shown]
.LBB0_45:
	s_endpgm
	.section	.rodata,"a",@progbits
	.p2align	6, 0x0
	.amdhsa_kernel fft_rtc_back_len1400_factors_2_2_2_5_7_5_wgs_56_tpt_56_halfLds_sp_op_CI_CI_unitstride_sbrr_dirReg
		.amdhsa_group_segment_fixed_size 0
		.amdhsa_private_segment_fixed_size 0
		.amdhsa_kernarg_size 104
		.amdhsa_user_sgpr_count 6
		.amdhsa_user_sgpr_private_segment_buffer 1
		.amdhsa_user_sgpr_dispatch_ptr 0
		.amdhsa_user_sgpr_queue_ptr 0
		.amdhsa_user_sgpr_kernarg_segment_ptr 1
		.amdhsa_user_sgpr_dispatch_id 0
		.amdhsa_user_sgpr_flat_scratch_init 0
		.amdhsa_user_sgpr_private_segment_size 0
		.amdhsa_wavefront_size32 1
		.amdhsa_uses_dynamic_stack 0
		.amdhsa_system_sgpr_private_segment_wavefront_offset 0
		.amdhsa_system_sgpr_workgroup_id_x 1
		.amdhsa_system_sgpr_workgroup_id_y 0
		.amdhsa_system_sgpr_workgroup_id_z 0
		.amdhsa_system_sgpr_workgroup_info 0
		.amdhsa_system_vgpr_workitem_id 0
		.amdhsa_next_free_vgpr 131
		.amdhsa_next_free_sgpr 27
		.amdhsa_reserve_vcc 1
		.amdhsa_reserve_flat_scratch 0
		.amdhsa_float_round_mode_32 0
		.amdhsa_float_round_mode_16_64 0
		.amdhsa_float_denorm_mode_32 3
		.amdhsa_float_denorm_mode_16_64 3
		.amdhsa_dx10_clamp 1
		.amdhsa_ieee_mode 1
		.amdhsa_fp16_overflow 0
		.amdhsa_workgroup_processor_mode 1
		.amdhsa_memory_ordered 1
		.amdhsa_forward_progress 0
		.amdhsa_shared_vgpr_count 0
		.amdhsa_exception_fp_ieee_invalid_op 0
		.amdhsa_exception_fp_denorm_src 0
		.amdhsa_exception_fp_ieee_div_zero 0
		.amdhsa_exception_fp_ieee_overflow 0
		.amdhsa_exception_fp_ieee_underflow 0
		.amdhsa_exception_fp_ieee_inexact 0
		.amdhsa_exception_int_div_zero 0
	.end_amdhsa_kernel
	.text
.Lfunc_end0:
	.size	fft_rtc_back_len1400_factors_2_2_2_5_7_5_wgs_56_tpt_56_halfLds_sp_op_CI_CI_unitstride_sbrr_dirReg, .Lfunc_end0-fft_rtc_back_len1400_factors_2_2_2_5_7_5_wgs_56_tpt_56_halfLds_sp_op_CI_CI_unitstride_sbrr_dirReg
                                        ; -- End function
	.section	.AMDGPU.csdata,"",@progbits
; Kernel info:
; codeLenInByte = 16004
; NumSgprs: 29
; NumVgprs: 131
; ScratchSize: 0
; MemoryBound: 0
; FloatMode: 240
; IeeeMode: 1
; LDSByteSize: 0 bytes/workgroup (compile time only)
; SGPRBlocks: 3
; VGPRBlocks: 16
; NumSGPRsForWavesPerEU: 29
; NumVGPRsForWavesPerEU: 131
; Occupancy: 7
; WaveLimiterHint : 1
; COMPUTE_PGM_RSRC2:SCRATCH_EN: 0
; COMPUTE_PGM_RSRC2:USER_SGPR: 6
; COMPUTE_PGM_RSRC2:TRAP_HANDLER: 0
; COMPUTE_PGM_RSRC2:TGID_X_EN: 1
; COMPUTE_PGM_RSRC2:TGID_Y_EN: 0
; COMPUTE_PGM_RSRC2:TGID_Z_EN: 0
; COMPUTE_PGM_RSRC2:TIDIG_COMP_CNT: 0
	.text
	.p2alignl 6, 3214868480
	.fill 48, 4, 3214868480
	.type	__hip_cuid_e9af82497553e5c0,@object ; @__hip_cuid_e9af82497553e5c0
	.section	.bss,"aw",@nobits
	.globl	__hip_cuid_e9af82497553e5c0
__hip_cuid_e9af82497553e5c0:
	.byte	0                               ; 0x0
	.size	__hip_cuid_e9af82497553e5c0, 1

	.ident	"AMD clang version 19.0.0git (https://github.com/RadeonOpenCompute/llvm-project roc-6.4.0 25133 c7fe45cf4b819c5991fe208aaa96edf142730f1d)"
	.section	".note.GNU-stack","",@progbits
	.addrsig
	.addrsig_sym __hip_cuid_e9af82497553e5c0
	.amdgpu_metadata
---
amdhsa.kernels:
  - .args:
      - .actual_access:  read_only
        .address_space:  global
        .offset:         0
        .size:           8
        .value_kind:     global_buffer
      - .offset:         8
        .size:           8
        .value_kind:     by_value
      - .actual_access:  read_only
        .address_space:  global
        .offset:         16
        .size:           8
        .value_kind:     global_buffer
      - .actual_access:  read_only
        .address_space:  global
        .offset:         24
        .size:           8
        .value_kind:     global_buffer
      - .actual_access:  read_only
        .address_space:  global
        .offset:         32
        .size:           8
        .value_kind:     global_buffer
      - .offset:         40
        .size:           8
        .value_kind:     by_value
      - .actual_access:  read_only
        .address_space:  global
        .offset:         48
        .size:           8
        .value_kind:     global_buffer
      - .actual_access:  read_only
        .address_space:  global
        .offset:         56
        .size:           8
        .value_kind:     global_buffer
      - .offset:         64
        .size:           4
        .value_kind:     by_value
      - .actual_access:  read_only
        .address_space:  global
        .offset:         72
        .size:           8
        .value_kind:     global_buffer
      - .actual_access:  read_only
        .address_space:  global
        .offset:         80
        .size:           8
        .value_kind:     global_buffer
      - .actual_access:  read_only
        .address_space:  global
        .offset:         88
        .size:           8
        .value_kind:     global_buffer
      - .actual_access:  write_only
        .address_space:  global
        .offset:         96
        .size:           8
        .value_kind:     global_buffer
    .group_segment_fixed_size: 0
    .kernarg_segment_align: 8
    .kernarg_segment_size: 104
    .language:       OpenCL C
    .language_version:
      - 2
      - 0
    .max_flat_workgroup_size: 56
    .name:           fft_rtc_back_len1400_factors_2_2_2_5_7_5_wgs_56_tpt_56_halfLds_sp_op_CI_CI_unitstride_sbrr_dirReg
    .private_segment_fixed_size: 0
    .sgpr_count:     29
    .sgpr_spill_count: 0
    .symbol:         fft_rtc_back_len1400_factors_2_2_2_5_7_5_wgs_56_tpt_56_halfLds_sp_op_CI_CI_unitstride_sbrr_dirReg.kd
    .uniform_work_group_size: 1
    .uses_dynamic_stack: false
    .vgpr_count:     131
    .vgpr_spill_count: 0
    .wavefront_size: 32
    .workgroup_processor_mode: 1
amdhsa.target:   amdgcn-amd-amdhsa--gfx1030
amdhsa.version:
  - 1
  - 2
...

	.end_amdgpu_metadata
